;; amdgpu-corpus repo=ROCm/rocFFT kind=compiled arch=gfx950 opt=O3
	.text
	.amdgcn_target "amdgcn-amd-amdhsa--gfx950"
	.amdhsa_code_object_version 6
	.protected	bluestein_single_back_len3200_dim1_dp_op_CI_CI ; -- Begin function bluestein_single_back_len3200_dim1_dp_op_CI_CI
	.globl	bluestein_single_back_len3200_dim1_dp_op_CI_CI
	.p2align	8
	.type	bluestein_single_back_len3200_dim1_dp_op_CI_CI,@function
bluestein_single_back_len3200_dim1_dp_op_CI_CI: ; @bluestein_single_back_len3200_dim1_dp_op_CI_CI
; %bb.0:
	s_load_dwordx4 s[12:15], s[0:1], 0x28
	v_mul_u32_u24_e32 v1, 0x19a, v0
	v_add_u32_sdwa v172, s2, v1 dst_sel:DWORD dst_unused:UNUSED_PAD src0_sel:DWORD src1_sel:WORD_1
	v_mov_b32_e32 v173, 0
	s_waitcnt lgkmcnt(0)
	v_cmp_gt_u64_e32 vcc, s[12:13], v[172:173]
	s_and_saveexec_b64 s[2:3], vcc
	s_cbranch_execz .LBB0_2
; %bb.1:
	s_load_dwordx4 s[4:7], s[0:1], 0x0
	s_load_dwordx4 s[8:11], s[0:1], 0x18
	s_load_dwordx2 s[2:3], s[0:1], 0x38
	s_movk_i32 s0, 0xa0
	v_mul_lo_u16_sdwa v1, v1, s0 dst_sel:DWORD dst_unused:UNUSED_PAD src0_sel:WORD_1 src1_sel:DWORD
	s_mov_b32 s0, 0
	v_mov_b32_e32 v99, s0
	s_waitcnt lgkmcnt(0)
	v_mov_b32_e32 v4, s2
	v_mov_b32_e32 v5, s3
	s_load_dwordx4 s[0:3], s[10:11], 0x0
	v_accvgpr_write_b32 a0, v4
	v_accvgpr_write_b32 a1, v5
	v_sub_u16_e32 v98, v0, v1
	v_mov_b32_e32 v2, s14
	s_waitcnt lgkmcnt(0)
	v_mad_u64_u32 v[4:5], s[10:11], s2, v172, 0
	s_load_dwordx4 s[8:11], s[8:9], 0x0
	v_mov_b32_e32 v0, v5
	v_mad_u64_u32 v[0:1], s[2:3], s3, v172, v[0:1]
	v_mov_b32_e32 v5, v0
	v_accvgpr_write_b32 a2, v4
	s_waitcnt lgkmcnt(0)
	v_mad_u64_u32 v[0:1], s[2:3], s10, v172, 0
	v_accvgpr_write_b32 a3, v5
	v_mov_b32_e32 v4, v1
	v_mad_u64_u32 v[4:5], s[2:3], s11, v172, v[4:5]
	v_mov_b32_e32 v1, v4
	v_mad_u64_u32 v[4:5], s[2:3], s8, v98, 0
	v_mov_b32_e32 v6, v5
	v_mov_b32_e32 v3, s15
	v_mad_u64_u32 v[6:7], s[2:3], s9, v98, v[6:7]
	v_mov_b32_e32 v5, v6
	v_lshl_add_u64 v[0:1], v[0:1], 4, v[2:3]
	v_lshl_add_u64 v[2:3], v[4:5], 4, v[0:1]
	v_lshlrev_b32_e32 v172, 4, v98
	global_load_dwordx4 v[6:9], v[2:3], off
	global_load_dwordx4 v[14:17], v172, s[4:5]
	s_mov_b64 s[2:3], 0x140
	v_lshl_add_u64 v[4:5], s[4:5], 0, v[172:173]
	v_lshl_add_u64 v[80:81], v[98:99], 0, s[2:3]
	s_movk_i32 s24, 0x1000
	v_mov_b32_e32 v24, 0x1400
	s_movk_i32 s25, 0x2000
	s_movk_i32 s26, 0x3000
	s_movk_i32 s27, 0x6000
	s_movk_i32 s28, 0x7000
	s_mov_b32 s29, 0x8000
	v_mov_b32_e32 v25, 0x2800
	s_mov_b32 s30, 0xb000
	s_add_u32 s20, s4, 0xc800
	s_addc_u32 s21, s5, 0
	s_movk_i32 s31, 0x4000
	s_movk_i32 s33, 0x5000
	s_mov_b32 s34, 0x9000
	s_mov_b32 s35, 0xa000
	;; [unrolled: 1-line block ×8, first 2 shown]
	v_mul_lo_u16_e32 v81, 10, v98
	s_movk_i32 s22, 0xcd
	v_lshlrev_b32_e32 v167, 4, v81
	v_mul_lo_u16_sdwa v81, v98, s22 dst_sel:DWORD dst_unused:UNUSED_PAD src0_sel:BYTE_0 src1_sel:DWORD
	v_lshrrev_b16_e32 v81, 11, v81
	s_movk_i32 s22, 0x90
	s_mov_b64 s[36:37], 0x3660
	s_waitcnt vmcnt(0)
	v_accvgpr_write_b32 a4, v14
	v_mul_f64 v[10:11], v[8:9], v[16:17]
	v_fmac_f64_e32 v[10:11], v[6:7], v[14:15]
	v_mul_f64 v[6:7], v[6:7], v[16:17]
	v_fma_f64 v[12:13], v[8:9], v[14:15], -v[6:7]
	v_mov_b32_e32 v6, 0x1400
	v_mad_u64_u32 v[2:3], s[2:3], s8, v6, v[2:3]
	ds_write_b128 v172, v[10:13]
	s_mul_i32 s2, s9, 0x1400
	v_add_co_u32_e32 v12, vcc, s24, v4
	v_add_u32_e32 v3, s2, v3
	s_nop 0
	v_addc_co_u32_e32 v13, vcc, 0, v5, vcc
	global_load_dwordx4 v[6:9], v[2:3], off
	global_load_dwordx4 v[18:21], v[12:13], off offset:1024
	v_accvgpr_write_b32 a5, v15
	v_accvgpr_write_b32 a6, v16
	;; [unrolled: 1-line block ×3, first 2 shown]
	v_mad_u64_u32 v[2:3], s[10:11], s8, v24, v[2:3]
	v_add_co_u32_e32 v10, vcc, s25, v4
	v_add_u32_e32 v3, s2, v3
	s_nop 0
	v_addc_co_u32_e32 v11, vcc, 0, v5, vcc
	s_mul_i32 s3, s9, 0x2800
	s_waitcnt vmcnt(0)
	v_accvgpr_write_b32 a8, v18
	v_mul_f64 v[14:15], v[8:9], v[20:21]
	v_fmac_f64_e32 v[14:15], v[6:7], v[18:19]
	v_mul_f64 v[6:7], v[6:7], v[20:21]
	v_fma_f64 v[16:17], v[8:9], v[18:19], -v[6:7]
	v_accvgpr_write_b32 a9, v19
	v_accvgpr_write_b32 a10, v20
	;; [unrolled: 1-line block ×3, first 2 shown]
	global_load_dwordx4 v[6:9], v[2:3], off
	global_load_dwordx4 v[18:21], v[10:11], off offset:2048
	ds_write_b128 v172, v[14:17] offset:5120
	v_mad_u64_u32 v[2:3], s[10:11], s8, v24, v[2:3]
	v_add_u32_e32 v3, s2, v3
	v_or_b32_e32 v10, 0x500, v98
	v_lshlrev_b32_e32 v128, 4, v10
	v_accvgpr_write_b32 a20, v10
	s_waitcnt vmcnt(0)
	v_mul_f64 v[14:15], v[8:9], v[20:21]
	v_fmac_f64_e32 v[14:15], v[6:7], v[18:19]
	v_mul_f64 v[6:7], v[6:7], v[20:21]
	v_fma_f64 v[16:17], v[8:9], v[18:19], -v[6:7]
	ds_write_b128 v172, v[14:17] offset:10240
	v_add_co_u32_e32 v14, vcc, s26, v4
	v_accvgpr_write_b32 a16, v18
	s_nop 0
	v_addc_co_u32_e32 v15, vcc, 0, v5, vcc
	v_accvgpr_write_b32 a17, v19
	v_accvgpr_write_b32 a18, v20
	;; [unrolled: 1-line block ×3, first 2 shown]
	global_load_dwordx4 v[6:9], v[2:3], off
	global_load_dwordx4 v[20:23], v[14:15], off offset:3072
	s_waitcnt vmcnt(0)
	v_mul_f64 v[16:17], v[8:9], v[22:23]
	v_fmac_f64_e32 v[16:17], v[6:7], v[20:21]
	v_mul_f64 v[6:7], v[6:7], v[22:23]
	v_fma_f64 v[18:19], v[8:9], v[20:21], -v[6:7]
	v_mad_u64_u32 v[6:7], s[10:11], s8, v10, 0
	v_mov_b32_e32 v8, v7
	v_mad_u64_u32 v[8:9], s[10:11], s9, v10, v[8:9]
	v_mov_b32_e32 v7, v8
	v_accvgpr_write_b32 a25, v23
	v_lshl_add_u64 v[6:7], v[6:7], 4, v[0:1]
	v_accvgpr_write_b32 a24, v22
	v_accvgpr_write_b32 a23, v21
	;; [unrolled: 1-line block ×3, first 2 shown]
	global_load_dwordx4 v[6:9], v[6:7], off
	ds_write_b128 v172, v[16:19] offset:15360
	global_load_dwordx4 v[20:23], v128, s[4:5]
	v_add_co_u32_e32 v10, vcc, s27, v4
	s_waitcnt vmcnt(0)
	v_accvgpr_write_b32 a29, v23
	v_mul_f64 v[16:17], v[8:9], v[22:23]
	v_fmac_f64_e32 v[16:17], v[6:7], v[20:21]
	v_mul_f64 v[6:7], v[6:7], v[22:23]
	v_fma_f64 v[18:19], v[8:9], v[20:21], -v[6:7]
	v_mov_b32_e32 v6, 0x2800
	v_mad_u64_u32 v[2:3], s[10:11], s8, v6, v[2:3]
	v_add_u32_e32 v3, s3, v3
	v_addc_co_u32_e32 v11, vcc, 0, v5, vcc
	v_accvgpr_write_b32 a28, v22
	v_accvgpr_write_b32 a27, v21
	;; [unrolled: 1-line block ×3, first 2 shown]
	global_load_dwordx4 v[6:9], v[2:3], off
	global_load_dwordx4 v[20:23], v[10:11], off offset:1024
	ds_write_b128 v172, v[16:19] offset:20480
	v_mad_u64_u32 v[2:3], s[10:11], s8, v24, v[2:3]
	v_add_u32_e32 v3, s2, v3
	s_waitcnt vmcnt(0)
	v_accvgpr_write_b32 a33, v23
	v_mul_f64 v[16:17], v[8:9], v[22:23]
	v_fmac_f64_e32 v[16:17], v[6:7], v[20:21]
	v_mul_f64 v[6:7], v[6:7], v[22:23]
	v_fma_f64 v[18:19], v[8:9], v[20:21], -v[6:7]
	ds_write_b128 v172, v[16:19] offset:25600
	v_add_co_u32_e32 v16, vcc, s28, v4
	v_accvgpr_write_b32 a32, v22
	s_nop 0
	v_addc_co_u32_e32 v17, vcc, 0, v5, vcc
	v_accvgpr_write_b32 a31, v21
	v_accvgpr_write_b32 a30, v20
	global_load_dwordx4 v[6:9], v[2:3], off
	global_load_dwordx4 v[20:23], v[16:17], off offset:2048
	s_waitcnt vmcnt(0)
	v_mul_f64 v[16:17], v[8:9], v[22:23]
	v_fmac_f64_e32 v[16:17], v[6:7], v[20:21]
	v_mul_f64 v[6:7], v[6:7], v[22:23]
	v_fma_f64 v[18:19], v[8:9], v[20:21], -v[6:7]
	v_mad_u64_u32 v[6:7], s[10:11], s8, v24, v[2:3]
	v_add_co_u32_e32 v8, vcc, s29, v4
	v_add_u32_e32 v7, s2, v7
	s_nop 0
	v_addc_co_u32_e32 v9, vcc, 0, v5, vcc
	ds_write_b128 v172, v[16:19] offset:30720
	global_load_dwordx4 v[16:19], v[6:7], off
	global_load_dwordx4 v[26:29], v[8:9], off offset:3072
	v_accvgpr_write_b32 a37, v23
	v_accvgpr_write_b32 a36, v22
	;; [unrolled: 1-line block ×4, first 2 shown]
	s_waitcnt vmcnt(0)
	v_mul_f64 v[2:3], v[16:17], v[28:29]
	v_mul_f64 v[20:21], v[18:19], v[28:29]
	v_fma_f64 v[22:23], v[18:19], v[26:27], -v[2:3]
	v_or_b32_e32 v18, 0xa00, v98
	v_mad_u64_u32 v[2:3], s[10:11], s8, v18, 0
	v_fmac_f64_e32 v[20:21], v[16:17], v[26:27]
	v_mov_b32_e32 v16, v3
	v_mad_u64_u32 v[16:17], s[10:11], s9, v18, v[16:17]
	v_mov_b32_e32 v3, v16
	v_lshl_add_u64 v[0:1], v[2:3], 4, v[0:1]
	v_lshlrev_b32_e32 v129, 4, v18
	ds_write_b128 v172, v[20:23] offset:35840
	global_load_dwordx4 v[0:3], v[0:1], off
	v_accvgpr_write_b32 a21, v18
	global_load_dwordx4 v[20:23], v129, s[4:5]
	v_accvgpr_write_b32 a41, v29
	v_accvgpr_write_b32 a40, v28
	;; [unrolled: 1-line block ×4, first 2 shown]
	s_waitcnt vmcnt(0)
	v_mul_f64 v[16:17], v[2:3], v[22:23]
	v_fmac_f64_e32 v[16:17], v[0:1], v[20:21]
	v_mul_f64 v[0:1], v[0:1], v[22:23]
	v_accvgpr_write_b32 a49, v23
	v_fma_f64 v[18:19], v[2:3], v[20:21], -v[0:1]
	v_accvgpr_write_b32 a48, v22
	v_accvgpr_write_b32 a47, v21
	;; [unrolled: 1-line block ×3, first 2 shown]
	v_mad_u64_u32 v[20:21], s[10:11], s8, v25, v[6:7]
	v_add_co_u32_e32 v6, vcc, s30, v4
	v_add_u32_e32 v21, s3, v21
	s_nop 0
	v_addc_co_u32_e32 v7, vcc, 0, v5, vcc
	global_load_dwordx4 v[0:3], v[20:21], off
	global_load_dwordx4 v[26:29], v[6:7], off offset:1024
	ds_write_b128 v172, v[16:19] offset:40960
	s_mov_b64 s[10:11], 0xa0
	s_mul_i32 s3, s9, 0xffff5600
	v_lshl_add_u64 v[82:83], v[98:99], 0, s[10:11]
	s_sub_i32 s3, s3, s8
	v_mul_lo_u16_e32 v83, 10, v81
	v_sub_u16_e32 v83, v98, v83
	v_and_b32_e32 v83, 0xff, v83
	v_mul_u32_u24_e32 v81, 0x64, v81
	v_add_lshl_u32 v99, v81, v83, 4
	v_add_u32_e32 v81, 0xffffff9c, v98
	s_waitcnt vmcnt(0)
	v_mul_f64 v[16:17], v[2:3], v[28:29]
	v_fmac_f64_e32 v[16:17], v[0:1], v[26:27]
	v_mul_f64 v[0:1], v[0:1], v[28:29]
	v_fma_f64 v[18:19], v[2:3], v[26:27], -v[0:1]
	v_mov_b32_e32 v0, 0xffff5600
	ds_write_b128 v172, v[16:19] offset:46080
	v_mad_u64_u32 v[16:17], s[10:11], s8, v0, v[20:21]
	v_accvgpr_write_b32 a45, v29
	v_add_u32_e32 v17, s3, v17
	v_accvgpr_write_b32 a44, v28
	v_accvgpr_write_b32 a43, v27
	;; [unrolled: 1-line block ×3, first 2 shown]
	global_load_dwordx4 v[0:3], v[16:17], off
	global_load_dwordx4 v[26:29], v172, s[4:5] offset:2560
	s_mov_b32 s11, 0xbfee6f0e
	s_waitcnt vmcnt(0)
	v_mul_f64 v[18:19], v[2:3], v[28:29]
	v_fmac_f64_e32 v[18:19], v[0:1], v[26:27]
	v_mul_f64 v[0:1], v[0:1], v[28:29]
	v_fma_f64 v[20:21], v[2:3], v[26:27], -v[0:1]
	ds_write_b128 v172, v[18:21] offset:2560
	v_mad_u64_u32 v[20:21], s[4:5], s8, v24, v[16:17]
	v_accvgpr_write_b32 a53, v29
	v_add_u32_e32 v21, s2, v21
	v_accvgpr_write_b32 a52, v28
	v_accvgpr_write_b32 a51, v27
	;; [unrolled: 1-line block ×3, first 2 shown]
	global_load_dwordx4 v[0:3], v[20:21], off
	global_load_dwordx4 v[26:29], v[12:13], off offset:3584
	s_waitcnt vmcnt(0)
	v_mul_f64 v[16:17], v[2:3], v[28:29]
	v_fmac_f64_e32 v[16:17], v[0:1], v[26:27]
	v_mul_f64 v[0:1], v[0:1], v[28:29]
	v_fma_f64 v[18:19], v[2:3], v[26:27], -v[0:1]
	ds_write_b128 v172, v[16:19] offset:7680
	v_mad_u64_u32 v[16:17], s[4:5], s8, v24, v[20:21]
	v_add_u32_e32 v17, s2, v17
	global_load_dwordx4 v[0:3], v[16:17], off
	global_load_dwordx4 v[18:21], v[14:15], off offset:512
	v_mad_u64_u32 v[16:17], s[4:5], s8, v24, v[16:17]
	v_add_u32_e32 v17, s2, v17
	v_accvgpr_write_b32 a57, v29
	v_accvgpr_write_b32 a56, v28
	;; [unrolled: 1-line block ×4, first 2 shown]
	s_waitcnt vmcnt(0)
	v_mul_f64 v[12:13], v[2:3], v[20:21]
	v_fmac_f64_e32 v[12:13], v[0:1], v[18:19]
	v_mul_f64 v[0:1], v[0:1], v[20:21]
	v_fma_f64 v[14:15], v[2:3], v[18:19], -v[0:1]
	ds_write_b128 v172, v[12:15] offset:12800
	v_add_co_u32_e32 v12, vcc, s31, v4
	v_accvgpr_write_b32 a61, v21
	s_nop 0
	v_addc_co_u32_e32 v13, vcc, 0, v5, vcc
	v_accvgpr_write_b32 a60, v20
	v_accvgpr_write_b32 a59, v19
	;; [unrolled: 1-line block ×3, first 2 shown]
	global_load_dwordx4 v[0:3], v[16:17], off
	global_load_dwordx4 v[18:21], v[12:13], off offset:1536
	v_mad_u64_u32 v[16:17], s[4:5], s8, v24, v[16:17]
	v_add_u32_e32 v17, s2, v17
	s_waitcnt vmcnt(0)
	v_mul_f64 v[12:13], v[2:3], v[20:21]
	v_fmac_f64_e32 v[12:13], v[0:1], v[18:19]
	v_mul_f64 v[0:1], v[0:1], v[20:21]
	v_fma_f64 v[14:15], v[2:3], v[18:19], -v[0:1]
	ds_write_b128 v172, v[12:15] offset:17920
	v_add_co_u32_e32 v12, vcc, s33, v4
	v_accvgpr_write_b32 a65, v21
	s_nop 0
	v_addc_co_u32_e32 v13, vcc, 0, v5, vcc
	v_accvgpr_write_b32 a64, v20
	v_accvgpr_write_b32 a63, v19
	;; [unrolled: 1-line block ×3, first 2 shown]
	global_load_dwordx4 v[0:3], v[16:17], off
	global_load_dwordx4 v[18:21], v[12:13], off offset:2560
	s_waitcnt vmcnt(0)
	v_mul_f64 v[12:13], v[2:3], v[20:21]
	v_fmac_f64_e32 v[12:13], v[0:1], v[18:19]
	v_mul_f64 v[0:1], v[0:1], v[20:21]
	v_fma_f64 v[14:15], v[2:3], v[18:19], -v[0:1]
	ds_write_b128 v172, v[12:15] offset:23040
	v_mad_u64_u32 v[14:15], s[4:5], s8, v24, v[16:17]
	v_accvgpr_write_b32 a69, v21
	v_add_u32_e32 v15, s2, v15
	v_accvgpr_write_b32 a68, v20
	v_accvgpr_write_b32 a67, v19
	v_accvgpr_write_b32 a66, v18
	global_load_dwordx4 v[0:3], v[14:15], off
	global_load_dwordx4 v[16:19], v[10:11], off offset:3584
	s_waitcnt vmcnt(0)
	v_mul_f64 v[10:11], v[2:3], v[18:19]
	v_fmac_f64_e32 v[10:11], v[0:1], v[16:17]
	v_mul_f64 v[0:1], v[0:1], v[18:19]
	v_fma_f64 v[12:13], v[2:3], v[16:17], -v[0:1]
	ds_write_b128 v172, v[10:13] offset:28160
	v_mad_u64_u32 v[12:13], s[4:5], s8, v24, v[14:15]
	v_accvgpr_write_b32 a73, v19
	v_add_u32_e32 v13, s2, v13
	v_accvgpr_write_b32 a72, v18
	v_accvgpr_write_b32 a71, v17
	v_accvgpr_write_b32 a70, v16
	global_load_dwordx4 v[0:3], v[12:13], off
	global_load_dwordx4 v[14:17], v[8:9], off offset:512
	v_mad_u64_u32 v[12:13], s[4:5], s8, v24, v[12:13]
	v_add_u32_e32 v13, s2, v13
	s_waitcnt vmcnt(0)
	v_mul_f64 v[8:9], v[2:3], v[16:17]
	v_fmac_f64_e32 v[8:9], v[0:1], v[14:15]
	v_mul_f64 v[0:1], v[0:1], v[16:17]
	v_fma_f64 v[10:11], v[2:3], v[14:15], -v[0:1]
	ds_write_b128 v172, v[8:11] offset:33280
	v_add_co_u32_e32 v8, vcc, s34, v4
	v_accvgpr_write_b32 a77, v17
	s_nop 0
	v_addc_co_u32_e32 v9, vcc, 0, v5, vcc
	v_accvgpr_write_b32 a76, v16
	v_accvgpr_write_b32 a75, v15
	;; [unrolled: 1-line block ×3, first 2 shown]
	global_load_dwordx4 v[0:3], v[12:13], off
	global_load_dwordx4 v[14:17], v[8:9], off offset:1536
	v_mad_u64_u32 v[12:13], s[4:5], s8, v24, v[12:13]
	v_add_co_u32_e32 v4, vcc, s35, v4
	v_add_u32_e32 v13, s2, v13
	s_nop 0
	v_addc_co_u32_e32 v5, vcc, 0, v5, vcc
	s_waitcnt vmcnt(0)
	v_mul_f64 v[8:9], v[2:3], v[16:17]
	v_fmac_f64_e32 v[8:9], v[0:1], v[14:15]
	v_mul_f64 v[0:1], v[0:1], v[16:17]
	v_accvgpr_write_b32 a81, v17
	v_fma_f64 v[10:11], v[2:3], v[14:15], -v[0:1]
	v_accvgpr_write_b32 a80, v16
	v_accvgpr_write_b32 a79, v15
	;; [unrolled: 1-line block ×3, first 2 shown]
	global_load_dwordx4 v[0:3], v[12:13], off
	global_load_dwordx4 v[14:17], v[4:5], off offset:2560
	ds_write_b128 v172, v[8:11] offset:38400
	v_mad_u64_u32 v[4:5], s[4:5], s8, v24, v[12:13]
	v_add_u32_e32 v5, s2, v5
	s_mov_b32 s4, 0x134454ff
	s_mov_b32 s5, 0x3fee6f0e
	;; [unrolled: 1-line block ×9, first 2 shown]
	s_waitcnt vmcnt(0)
	v_mul_f64 v[8:9], v[2:3], v[16:17]
	v_fmac_f64_e32 v[8:9], v[0:1], v[14:15]
	v_mul_f64 v[0:1], v[0:1], v[16:17]
	v_fma_f64 v[10:11], v[2:3], v[14:15], -v[0:1]
	ds_write_b128 v172, v[8:11] offset:43520
	global_load_dwordx4 v[0:3], v[4:5], off
	global_load_dwordx4 v[8:11], v[6:7], off offset:3584
	v_accvgpr_write_b32 a85, v17
	v_accvgpr_write_b32 a84, v16
	;; [unrolled: 1-line block ×4, first 2 shown]
	s_waitcnt vmcnt(0)
	v_mul_f64 v[4:5], v[2:3], v[10:11]
	v_fmac_f64_e32 v[4:5], v[0:1], v[8:9]
	v_mul_f64 v[0:1], v[0:1], v[10:11]
	v_fma_f64 v[6:7], v[2:3], v[8:9], -v[0:1]
	v_accvgpr_write_b32 a15, v11
	v_accvgpr_write_b32 a14, v10
	;; [unrolled: 1-line block ×4, first 2 shown]
	ds_write_b128 v172, v[4:7] offset:48640
	s_waitcnt lgkmcnt(0)
	s_barrier
	ds_read_b128 v[56:59], v172
	ds_read_b128 v[44:47], v172 offset:5120
	ds_read_b128 v[28:31], v172 offset:10240
	ds_read_b128 v[12:15], v172 offset:15360
	ds_read_b128 v[48:51], v172 offset:20480
	ds_read_b128 v[16:19], v172 offset:25600
	ds_read_b128 v[52:55], v172 offset:30720
	ds_read_b128 v[20:23], v172 offset:35840
	ds_read_b128 v[60:63], v172 offset:40960
	ds_read_b128 v[24:27], v172 offset:46080
	ds_read_b128 v[0:3], v172 offset:2560
	ds_read_b128 v[4:7], v172 offset:7680
	ds_read_b128 v[64:67], v172 offset:12800
	ds_read_b128 v[8:11], v172 offset:17920
	ds_read_b128 v[68:71], v172 offset:23040
	ds_read_b128 v[32:35], v172 offset:28160
	ds_read_b128 v[72:75], v172 offset:33280
	ds_read_b128 v[36:39], v172 offset:38400
	ds_read_b128 v[76:79], v172 offset:43520
	ds_read_b128 v[40:43], v172 offset:48640
	s_waitcnt lgkmcnt(14)
	v_add_f64 v[84:85], v[56:57], v[28:29]
	v_add_f64 v[84:85], v[84:85], v[48:49]
	s_waitcnt lgkmcnt(13)
	v_add_f64 v[84:85], v[84:85], v[52:53]
	s_waitcnt lgkmcnt(11)
	v_add_f64 v[86:87], v[84:85], v[60:61]
	v_add_f64 v[84:85], v[48:49], v[52:53]
	v_fma_f64 v[84:85], -0.5, v[84:85], v[56:57]
	v_add_f64 v[90:91], v[30:31], -v[62:63]
	v_fma_f64 v[88:89], s[4:5], v[90:91], v[84:85]
	v_add_f64 v[92:93], v[50:51], -v[54:55]
	v_add_f64 v[94:95], v[28:29], -v[48:49]
	;; [unrolled: 1-line block ×3, first 2 shown]
	v_fmac_f64_e32 v[84:85], s[10:11], v[90:91]
	v_fmac_f64_e32 v[88:89], s[2:3], v[92:93]
	v_add_f64 v[94:95], v[94:95], v[96:97]
	v_fmac_f64_e32 v[84:85], s[12:13], v[92:93]
	v_fmac_f64_e32 v[88:89], s[8:9], v[94:95]
	;; [unrolled: 1-line block ×3, first 2 shown]
	v_add_f64 v[94:95], v[28:29], v[60:61]
	v_fmac_f64_e32 v[56:57], -0.5, v[94:95]
	v_fma_f64 v[96:97], s[10:11], v[92:93], v[56:57]
	v_fmac_f64_e32 v[56:57], s[4:5], v[92:93]
	v_fmac_f64_e32 v[96:97], s[2:3], v[90:91]
	;; [unrolled: 1-line block ×3, first 2 shown]
	v_add_f64 v[90:91], v[58:59], v[30:31]
	v_add_f64 v[90:91], v[90:91], v[50:51]
	;; [unrolled: 1-line block ×3, first 2 shown]
	v_add_f64 v[94:95], v[48:49], -v[28:29]
	v_add_f64 v[100:101], v[52:53], -v[60:61]
	v_add_f64 v[92:93], v[90:91], v[62:63]
	v_add_f64 v[90:91], v[50:51], v[54:55]
	;; [unrolled: 1-line block ×3, first 2 shown]
	v_fma_f64 v[90:91], -0.5, v[90:91], v[58:59]
	v_add_f64 v[28:29], v[28:29], -v[60:61]
	v_fmac_f64_e32 v[96:97], s[8:9], v[94:95]
	v_fmac_f64_e32 v[56:57], s[8:9], v[94:95]
	v_fma_f64 v[94:95], s[10:11], v[28:29], v[90:91]
	v_add_f64 v[48:49], v[48:49], -v[52:53]
	v_add_f64 v[52:53], v[30:31], -v[50:51]
	;; [unrolled: 1-line block ×3, first 2 shown]
	v_fmac_f64_e32 v[90:91], s[4:5], v[28:29]
	v_fmac_f64_e32 v[94:95], s[12:13], v[48:49]
	v_add_f64 v[52:53], v[52:53], v[60:61]
	v_fmac_f64_e32 v[90:91], s[2:3], v[48:49]
	v_fmac_f64_e32 v[94:95], s[8:9], v[52:53]
	;; [unrolled: 1-line block ×3, first 2 shown]
	v_add_f64 v[52:53], v[30:31], v[62:63]
	v_fmac_f64_e32 v[58:59], -0.5, v[52:53]
	v_fma_f64 v[100:101], s[4:5], v[48:49], v[58:59]
	v_fmac_f64_e32 v[58:59], s[10:11], v[48:49]
	v_fmac_f64_e32 v[100:101], s[12:13], v[28:29]
	;; [unrolled: 1-line block ×3, first 2 shown]
	v_add_f64 v[28:29], v[44:45], v[12:13]
	v_add_f64 v[28:29], v[28:29], v[16:17]
	;; [unrolled: 1-line block ×3, first 2 shown]
	v_add_f64 v[30:31], v[50:51], -v[30:31]
	v_add_f64 v[50:51], v[54:55], -v[62:63]
	s_waitcnt lgkmcnt(10)
	v_add_f64 v[48:49], v[28:29], v[24:25]
	v_add_f64 v[28:29], v[16:17], v[20:21]
	;; [unrolled: 1-line block ×3, first 2 shown]
	v_fma_f64 v[50:51], -0.5, v[28:29], v[44:45]
	v_add_f64 v[28:29], v[14:15], -v[26:27]
	v_fmac_f64_e32 v[100:101], s[8:9], v[30:31]
	v_fmac_f64_e32 v[58:59], s[8:9], v[30:31]
	v_fma_f64 v[30:31], s[4:5], v[28:29], v[50:51]
	v_add_f64 v[52:53], v[18:19], -v[22:23]
	v_add_f64 v[54:55], v[12:13], -v[16:17]
	;; [unrolled: 1-line block ×3, first 2 shown]
	v_fmac_f64_e32 v[50:51], s[10:11], v[28:29]
	v_fmac_f64_e32 v[30:31], s[2:3], v[52:53]
	v_add_f64 v[54:55], v[54:55], v[60:61]
	v_fmac_f64_e32 v[50:51], s[12:13], v[52:53]
	v_fmac_f64_e32 v[30:31], s[8:9], v[54:55]
	;; [unrolled: 1-line block ×3, first 2 shown]
	v_add_f64 v[54:55], v[12:13], v[24:25]
	v_fmac_f64_e32 v[44:45], -0.5, v[54:55]
	v_fma_f64 v[54:55], s[10:11], v[52:53], v[44:45]
	v_fmac_f64_e32 v[44:45], s[4:5], v[52:53]
	v_fmac_f64_e32 v[54:55], s[2:3], v[28:29]
	;; [unrolled: 1-line block ×3, first 2 shown]
	v_add_f64 v[28:29], v[46:47], v[14:15]
	v_add_f64 v[28:29], v[28:29], v[18:19]
	v_add_f64 v[60:61], v[16:17], -v[12:13]
	v_add_f64 v[62:63], v[20:21], -v[24:25]
	v_add_f64 v[28:29], v[28:29], v[22:23]
	v_add_f64 v[60:61], v[60:61], v[62:63]
	;; [unrolled: 1-line block ×4, first 2 shown]
	v_fma_f64 v[52:53], -0.5, v[28:29], v[46:47]
	v_add_f64 v[12:13], v[12:13], -v[24:25]
	v_fmac_f64_e32 v[54:55], s[8:9], v[60:61]
	v_fmac_f64_e32 v[44:45], s[8:9], v[60:61]
	v_fma_f64 v[60:61], s[10:11], v[12:13], v[52:53]
	v_add_f64 v[16:17], v[16:17], -v[20:21]
	v_add_f64 v[20:21], v[14:15], -v[18:19]
	;; [unrolled: 1-line block ×3, first 2 shown]
	v_fmac_f64_e32 v[52:53], s[4:5], v[12:13]
	v_fmac_f64_e32 v[60:61], s[12:13], v[16:17]
	v_add_f64 v[20:21], v[20:21], v[24:25]
	v_fmac_f64_e32 v[52:53], s[2:3], v[16:17]
	v_fmac_f64_e32 v[60:61], s[8:9], v[20:21]
	;; [unrolled: 1-line block ×3, first 2 shown]
	v_add_f64 v[20:21], v[14:15], v[26:27]
	v_fmac_f64_e32 v[46:47], -0.5, v[20:21]
	v_fma_f64 v[102:103], s[4:5], v[16:17], v[46:47]
	v_add_f64 v[14:15], v[18:19], -v[14:15]
	v_add_f64 v[18:19], v[22:23], -v[26:27]
	v_fmac_f64_e32 v[46:47], s[10:11], v[16:17]
	v_add_f64 v[14:15], v[14:15], v[18:19]
	v_fmac_f64_e32 v[46:47], s[2:3], v[12:13]
	v_fmac_f64_e32 v[46:47], s[8:9], v[14:15]
	v_mul_f64 v[108:109], v[44:45], s[16:17]
	v_mul_f64 v[110:111], v[50:51], s[14:15]
	;; [unrolled: 1-line block ×3, first 2 shown]
	v_fmac_f64_e32 v[108:109], s[4:5], v[46:47]
	v_fmac_f64_e32 v[110:111], s[2:3], v[52:53]
	v_mul_f64 v[112:113], v[30:31], s[12:13]
	v_fmac_f64_e32 v[104:105], s[2:3], v[60:61]
	v_add_f64 v[28:29], v[56:57], v[108:109]
	v_add_f64 v[24:25], v[84:85], v[110:111]
	v_fmac_f64_e32 v[112:113], s[18:19], v[60:61]
	v_add_f64 v[60:61], v[56:57], -v[108:109]
	v_add_f64 v[56:57], v[84:85], -v[110:111]
	s_waitcnt lgkmcnt(7)
	v_add_f64 v[84:85], v[0:1], v[64:65]
	v_fmac_f64_e32 v[102:103], s[12:13], v[12:13]
	s_waitcnt lgkmcnt(5)
	v_add_f64 v[84:85], v[84:85], v[68:69]
	v_fmac_f64_e32 v[102:103], s[8:9], v[14:15]
	v_mul_f64 v[114:115], v[54:55], s[10:11]
	s_waitcnt lgkmcnt(3)
	v_add_f64 v[84:85], v[84:85], v[72:73]
	v_add_f64 v[20:21], v[86:87], v[48:49]
	;; [unrolled: 1-line block ×3, first 2 shown]
	v_mul_f64 v[106:107], v[102:103], s[4:5]
	v_fmac_f64_e32 v[114:115], s[8:9], v[102:103]
	v_mul_f64 v[102:103], v[46:47], s[16:17]
	v_mul_f64 v[116:117], v[52:53], s[14:15]
	v_add_f64 v[52:53], v[86:87], -v[48:49]
	v_add_f64 v[48:49], v[88:89], -v[104:105]
	s_waitcnt lgkmcnt(1)
	v_add_f64 v[88:89], v[84:85], v[76:77]
	v_add_f64 v[84:85], v[68:69], v[72:73]
	v_fmac_f64_e32 v[106:107], s[8:9], v[54:55]
	v_fmac_f64_e32 v[102:103], s[10:11], v[44:45]
	;; [unrolled: 1-line block ×3, first 2 shown]
	v_fma_f64 v[86:87], -0.5, v[84:85], v[0:1]
	v_add_f64 v[84:85], v[66:67], -v[78:79]
	v_add_f64 v[12:13], v[96:97], v[106:107]
	v_add_f64 v[22:23], v[92:93], v[62:63]
	;; [unrolled: 1-line block ×5, first 2 shown]
	v_add_f64 v[44:45], v[96:97], -v[106:107]
	v_add_f64 v[54:55], v[92:93], -v[62:63]
	;; [unrolled: 1-line block ×5, first 2 shown]
	v_fma_f64 v[90:91], s[4:5], v[84:85], v[86:87]
	v_add_f64 v[92:93], v[70:71], -v[74:75]
	v_add_f64 v[94:95], v[64:65], -v[68:69]
	;; [unrolled: 1-line block ×3, first 2 shown]
	v_fmac_f64_e32 v[86:87], s[10:11], v[84:85]
	v_fmac_f64_e32 v[90:91], s[2:3], v[92:93]
	v_add_f64 v[94:95], v[94:95], v[96:97]
	v_fmac_f64_e32 v[86:87], s[12:13], v[92:93]
	v_fmac_f64_e32 v[90:91], s[8:9], v[94:95]
	;; [unrolled: 1-line block ×3, first 2 shown]
	v_add_f64 v[94:95], v[64:65], v[76:77]
	v_fmac_f64_e32 v[0:1], -0.5, v[94:95]
	v_fma_f64 v[96:97], s[10:11], v[92:93], v[0:1]
	v_fmac_f64_e32 v[0:1], s[4:5], v[92:93]
	v_fmac_f64_e32 v[96:97], s[2:3], v[84:85]
	;; [unrolled: 1-line block ×3, first 2 shown]
	v_add_f64 v[84:85], v[2:3], v[66:67]
	v_add_f64 v[84:85], v[84:85], v[70:71]
	;; [unrolled: 1-line block ×4, first 2 shown]
	v_add_f64 v[46:47], v[100:101], -v[114:115]
	v_add_f64 v[94:95], v[68:69], -v[64:65]
	;; [unrolled: 1-line block ×3, first 2 shown]
	v_add_f64 v[92:93], v[84:85], v[78:79]
	v_add_f64 v[84:85], v[70:71], v[74:75]
	v_add_f64 v[94:95], v[94:95], v[100:101]
	v_fma_f64 v[84:85], -0.5, v[84:85], v[2:3]
	v_add_f64 v[64:65], v[64:65], -v[76:77]
	v_fmac_f64_e32 v[96:97], s[8:9], v[94:95]
	v_fmac_f64_e32 v[0:1], s[8:9], v[94:95]
	v_fma_f64 v[94:95], s[10:11], v[64:65], v[84:85]
	v_add_f64 v[68:69], v[68:69], -v[72:73]
	v_add_f64 v[72:73], v[66:67], -v[70:71]
	;; [unrolled: 1-line block ×3, first 2 shown]
	v_fmac_f64_e32 v[84:85], s[4:5], v[64:65]
	v_fmac_f64_e32 v[94:95], s[12:13], v[68:69]
	v_add_f64 v[72:73], v[72:73], v[76:77]
	v_fmac_f64_e32 v[84:85], s[2:3], v[68:69]
	v_fmac_f64_e32 v[94:95], s[8:9], v[72:73]
	;; [unrolled: 1-line block ×3, first 2 shown]
	v_add_f64 v[72:73], v[66:67], v[78:79]
	v_fmac_f64_e32 v[2:3], -0.5, v[72:73]
	v_fma_f64 v[100:101], s[4:5], v[68:69], v[2:3]
	v_fmac_f64_e32 v[2:3], s[10:11], v[68:69]
	v_fmac_f64_e32 v[100:101], s[12:13], v[64:65]
	;; [unrolled: 1-line block ×3, first 2 shown]
	v_add_f64 v[64:65], v[4:5], v[8:9]
	v_add_f64 v[64:65], v[64:65], v[32:33]
	;; [unrolled: 1-line block ×3, first 2 shown]
	v_add_f64 v[66:67], v[70:71], -v[66:67]
	v_add_f64 v[70:71], v[74:75], -v[78:79]
	s_waitcnt lgkmcnt(0)
	v_add_f64 v[68:69], v[64:65], v[40:41]
	v_add_f64 v[64:65], v[32:33], v[36:37]
	;; [unrolled: 1-line block ×3, first 2 shown]
	v_fma_f64 v[70:71], -0.5, v[64:65], v[4:5]
	v_add_f64 v[64:65], v[10:11], -v[42:43]
	v_fmac_f64_e32 v[100:101], s[8:9], v[66:67]
	v_fmac_f64_e32 v[2:3], s[8:9], v[66:67]
	v_fma_f64 v[66:67], s[4:5], v[64:65], v[70:71]
	v_add_f64 v[72:73], v[34:35], -v[38:39]
	v_add_f64 v[74:75], v[8:9], -v[32:33]
	;; [unrolled: 1-line block ×3, first 2 shown]
	v_fmac_f64_e32 v[70:71], s[10:11], v[64:65]
	v_fmac_f64_e32 v[66:67], s[2:3], v[72:73]
	v_add_f64 v[74:75], v[74:75], v[76:77]
	v_fmac_f64_e32 v[70:71], s[12:13], v[72:73]
	v_fmac_f64_e32 v[66:67], s[8:9], v[74:75]
	;; [unrolled: 1-line block ×3, first 2 shown]
	v_add_f64 v[74:75], v[8:9], v[40:41]
	v_fmac_f64_e32 v[4:5], -0.5, v[74:75]
	v_fma_f64 v[74:75], s[10:11], v[72:73], v[4:5]
	v_fmac_f64_e32 v[4:5], s[4:5], v[72:73]
	v_fmac_f64_e32 v[74:75], s[2:3], v[64:65]
	;; [unrolled: 1-line block ×3, first 2 shown]
	v_add_f64 v[64:65], v[6:7], v[10:11]
	v_add_f64 v[64:65], v[64:65], v[34:35]
	v_add_f64 v[76:77], v[32:33], -v[8:9]
	v_add_f64 v[78:79], v[36:37], -v[40:41]
	v_add_f64 v[64:65], v[64:65], v[38:39]
	v_add_f64 v[76:77], v[76:77], v[78:79]
	;; [unrolled: 1-line block ×4, first 2 shown]
	v_fma_f64 v[72:73], -0.5, v[64:65], v[6:7]
	v_add_f64 v[8:9], v[8:9], -v[40:41]
	v_fmac_f64_e32 v[74:75], s[8:9], v[76:77]
	v_fmac_f64_e32 v[4:5], s[8:9], v[76:77]
	v_fma_f64 v[76:77], s[10:11], v[8:9], v[72:73]
	v_add_f64 v[32:33], v[32:33], -v[36:37]
	v_add_f64 v[36:37], v[10:11], -v[34:35]
	;; [unrolled: 1-line block ×3, first 2 shown]
	v_fmac_f64_e32 v[72:73], s[4:5], v[8:9]
	v_fmac_f64_e32 v[76:77], s[12:13], v[32:33]
	v_add_f64 v[36:37], v[36:37], v[40:41]
	v_fmac_f64_e32 v[72:73], s[2:3], v[32:33]
	v_fmac_f64_e32 v[76:77], s[8:9], v[36:37]
	;; [unrolled: 1-line block ×3, first 2 shown]
	v_add_f64 v[36:37], v[10:11], v[42:43]
	v_fmac_f64_e32 v[6:7], -0.5, v[36:37]
	v_fma_f64 v[102:103], s[4:5], v[32:33], v[6:7]
	v_add_f64 v[10:11], v[34:35], -v[10:11]
	v_add_f64 v[34:35], v[38:39], -v[42:43]
	v_fmac_f64_e32 v[6:7], s[10:11], v[32:33]
	v_fmac_f64_e32 v[102:103], s[12:13], v[8:9]
	v_add_f64 v[10:11], v[10:11], v[34:35]
	v_fmac_f64_e32 v[6:7], s[2:3], v[8:9]
	v_fmac_f64_e32 v[102:103], s[8:9], v[10:11]
	;; [unrolled: 1-line block ×3, first 2 shown]
	v_mul_f64 v[114:115], v[74:75], s[10:11]
	v_mul_f64 v[106:107], v[102:103], s[4:5]
	v_fmac_f64_e32 v[114:115], s[8:9], v[102:103]
	v_mul_f64 v[102:103], v[6:7], s[16:17]
	v_mul_f64 v[116:117], v[72:73], s[14:15]
	;; [unrolled: 1-line block ×6, first 2 shown]
	v_fmac_f64_e32 v[102:103], s[10:11], v[4:5]
	v_fmac_f64_e32 v[116:117], s[12:13], v[70:71]
	;; [unrolled: 1-line block ×6, first 2 shown]
	v_add_f64 v[38:39], v[92:93], v[78:79]
	v_fmac_f64_e32 v[112:113], s[18:19], v[76:77]
	v_add_f64 v[66:67], v[2:3], v[102:103]
	v_add_f64 v[42:43], v[84:85], v[116:117]
	v_add_f64 v[74:75], v[92:93], -v[78:79]
	v_add_f64 v[78:79], v[2:3], -v[102:103]
	;; [unrolled: 1-line block ×3, first 2 shown]
	s_barrier
	ds_write_b128 v167, v[20:23]
	ds_write_b128 v167, v[16:19] offset:16
	ds_write_b128 v167, v[12:15] offset:32
	;; [unrolled: 1-line block ×9, first 2 shown]
	v_mul_u32_u24_e32 v12, 10, v82
	v_mov_b64_e32 v[84:85], s[6:7]
	v_add_f64 v[36:37], v[88:89], v[68:69]
	v_add_f64 v[32:33], v[90:91], v[104:105]
	;; [unrolled: 1-line block ×7, first 2 shown]
	v_add_f64 v[72:73], v[88:89], -v[68:69]
	v_add_f64 v[68:69], v[90:91], -v[104:105]
	;; [unrolled: 1-line block ×7, first 2 shown]
	v_lshlrev_b32_e32 v166, 4, v12
	v_mad_u64_u32 v[88:89], s[22:23], v83, s22, v[84:85]
	ds_write_b128 v166, v[36:39]
	ds_write_b128 v166, v[32:35] offset:16
	ds_write_b128 v166, v[8:11] offset:32
	;; [unrolled: 1-line block ×9, first 2 shown]
	s_waitcnt lgkmcnt(0)
	s_barrier
	ds_read_b128 v[16:19], v172
	ds_read_b128 v[76:79], v172 offset:5120
	ds_read_b128 v[72:75], v172 offset:10240
	;; [unrolled: 1-line block ×19, first 2 shown]
	global_load_dwordx4 v[94:97], v[88:89], off offset:48
	global_load_dwordx4 v[90:93], v[88:89], off offset:32
	;; [unrolled: 1-line block ×3, first 2 shown]
	global_load_dwordx4 v[104:107], v[88:89], off
	s_mov_b32 s22, 0xcccd
	s_waitcnt vmcnt(3)
	v_accvgpr_write_b32 a86, v94
	v_accvgpr_write_b32 a87, v95
	;; [unrolled: 1-line block ×3, first 2 shown]
	s_waitcnt vmcnt(0) lgkmcnt(14)
	v_mul_f64 v[84:85], v[78:79], v[106:107]
	v_fma_f64 v[86:87], v[76:77], v[104:105], -v[84:85]
	v_mul_f64 v[76:77], v[76:77], v[106:107]
	v_accvgpr_write_b32 a98, v104
	v_fmac_f64_e32 v[76:77], v[78:79], v[104:105]
	v_accvgpr_write_b32 a99, v105
	v_accvgpr_write_b32 a100, v106
	;; [unrolled: 1-line block ×3, first 2 shown]
	v_mov_b64_e32 v[106:107], v[102:103]
	v_mov_b64_e32 v[104:105], v[100:101]
	v_mul_f64 v[78:79], v[74:75], v[106:107]
	v_mul_f64 v[102:103], v[72:73], v[106:107]
	v_accvgpr_write_b32 a94, v104
	v_fma_f64 v[108:109], v[72:73], v[104:105], -v[78:79]
	v_fmac_f64_e32 v[102:103], v[74:75], v[104:105]
	v_accvgpr_write_b32 a95, v105
	v_accvgpr_write_b32 a96, v106
	;; [unrolled: 1-line block ×3, first 2 shown]
	v_mov_b64_e32 v[106:107], v[92:93]
	v_mov_b64_e32 v[104:105], v[90:91]
	v_mul_f64 v[72:73], v[70:71], v[106:107]
	v_mul_f64 v[90:91], v[68:69], v[106:107]
	v_accvgpr_write_b32 a90, v104
	v_fma_f64 v[92:93], v[68:69], v[104:105], -v[72:73]
	v_fmac_f64_e32 v[90:91], v[70:71], v[104:105]
	v_accvgpr_write_b32 a91, v105
	v_accvgpr_write_b32 a92, v106
	;; [unrolled: 1-line block ×3, first 2 shown]
	v_mul_f64 v[68:69], v[66:67], v[96:97]
	v_mul_f64 v[104:105], v[64:65], v[96:97]
	v_fma_f64 v[110:111], v[64:65], v[94:95], -v[68:69]
	v_fmac_f64_e32 v[104:105], v[66:67], v[94:95]
	global_load_dwordx4 v[66:69], v[88:89], off offset:112
	global_load_dwordx4 v[70:73], v[88:89], off offset:96
	;; [unrolled: 1-line block ×4, first 2 shown]
	v_accvgpr_write_b32 a89, v97
	s_waitcnt vmcnt(3)
	v_accvgpr_write_b32 a105, v69
	s_waitcnt vmcnt(2) lgkmcnt(12)
	v_mul_f64 v[96:97], v[52:53], v[72:73]
	v_accvgpr_write_b32 a109, v73
	s_waitcnt vmcnt(0)
	v_mul_f64 v[64:65], v[62:63], v[118:119]
	v_mul_f64 v[94:95], v[60:61], v[118:119]
	v_fma_f64 v[84:85], v[60:61], v[116:117], -v[64:65]
	v_fmac_f64_e32 v[94:95], v[62:63], v[116:117]
	v_mov_b64_e32 v[62:63], v[112:113]
	v_mov_b64_e32 v[64:65], v[114:115]
	v_accvgpr_write_b32 a114, v116
	v_mul_f64 v[60:61], v[58:59], v[64:65]
	v_accvgpr_write_b32 a115, v117
	v_accvgpr_write_b32 a116, v118
	;; [unrolled: 1-line block ×3, first 2 shown]
	v_fma_f64 v[118:119], v[56:57], v[62:63], -v[60:61]
	v_mul_f64 v[114:115], v[56:57], v[64:65]
	v_mul_f64 v[56:57], v[54:55], v[72:73]
	v_fma_f64 v[100:101], v[52:53], v[70:71], -v[56:57]
	s_waitcnt lgkmcnt(11)
	v_mul_f64 v[52:53], v[50:51], v[68:69]
	v_mul_f64 v[116:117], v[48:49], v[68:69]
	v_fma_f64 v[120:121], v[48:49], v[66:67], -v[52:53]
	v_fmac_f64_e32 v[116:117], v[50:51], v[66:67]
	global_load_dwordx4 v[50:53], v[88:89], off offset:128
	v_accvgpr_write_b32 a113, v65
	v_accvgpr_write_b32 a112, v64
	;; [unrolled: 1-line block ×4, first 2 shown]
	v_fmac_f64_e32 v[96:97], v[54:55], v[70:71]
	v_accvgpr_write_b32 a108, v72
	v_accvgpr_write_b32 a107, v71
	;; [unrolled: 1-line block ×6, first 2 shown]
	v_fmac_f64_e32 v[114:115], v[58:59], v[62:63]
	s_waitcnt vmcnt(0) lgkmcnt(10)
	v_mul_f64 v[48:49], v[46:47], v[52:53]
	v_fma_f64 v[112:113], v[44:45], v[50:51], -v[48:49]
	v_mul_f64 v[106:107], v[44:45], v[52:53]
	v_mul_u32_u24_sdwa v44, v82, s22 dst_sel:DWORD dst_unused:UNUSED_PAD src0_sel:WORD_0 src1_sel:DWORD
	v_lshrrev_b32_e32 v124, 19, v44
	v_mul_lo_u16_e32 v44, 10, v124
	v_sub_u16_e32 v125, v82, v44
	v_accvgpr_write_b32 a121, v53
	v_mul_lo_u16_e32 v44, 0x90, v125
	v_mov_b32_e32 v45, v173
	v_fmac_f64_e32 v[106:107], v[46:47], v[50:51]
	v_accvgpr_write_b32 a120, v52
	v_accvgpr_write_b32 a119, v51
	v_accvgpr_write_b32 a118, v50
	v_lshl_add_u64 v[50:51], s[6:7], 0, v[44:45]
	global_load_dwordx4 v[46:49], v[50:51], off offset:48
	global_load_dwordx4 v[52:55], v[50:51], off offset:32
	global_load_dwordx4 v[64:67], v[50:51], off offset:16
	global_load_dwordx4 v[68:71], v[50:51], off
	s_movk_i32 s22, 0x64
	v_cmp_gt_u16_e32 vcc, s22, v98
	s_waitcnt vmcnt(3)
	v_accvgpr_write_b32 a141, v49
	v_accvgpr_write_b32 a140, v48
	;; [unrolled: 1-line block ×3, first 2 shown]
	s_waitcnt vmcnt(0) lgkmcnt(8)
	v_mul_f64 v[44:45], v[42:43], v[70:71]
	v_mul_f64 v[62:63], v[40:41], v[70:71]
	v_fma_f64 v[58:59], v[40:41], v[68:69], -v[44:45]
	v_fmac_f64_e32 v[62:63], v[42:43], v[68:69]
	v_mov_b64_e32 v[42:43], v[64:65]
	v_mov_b64_e32 v[44:45], v[66:67]
	s_waitcnt lgkmcnt(7)
	v_mul_f64 v[40:41], v[38:39], v[44:45]
	v_mul_f64 v[64:65], v[36:37], v[44:45]
	v_fma_f64 v[72:73], v[36:37], v[42:43], -v[40:41]
	v_fmac_f64_e32 v[64:65], v[38:39], v[42:43]
	v_mov_b64_e32 v[38:39], v[52:53]
	v_mov_b64_e32 v[40:41], v[54:55]
	v_accvgpr_write_b32 a153, v45
	s_waitcnt lgkmcnt(6)
	v_mul_f64 v[36:37], v[34:35], v[40:41]
	v_accvgpr_write_b32 a157, v71
	v_accvgpr_write_b32 a152, v44
	;; [unrolled: 1-line block ×4, first 2 shown]
	v_fma_f64 v[52:53], v[32:33], v[38:39], -v[36:37]
	v_mul_f64 v[44:45], v[32:33], v[40:41]
	v_accvgpr_write_b32 a145, v41
	s_waitcnt lgkmcnt(5)
	v_mul_f64 v[32:33], v[30:31], v[48:49]
	v_mul_f64 v[66:67], v[28:29], v[48:49]
	v_accvgpr_write_b32 a156, v70
	v_accvgpr_write_b32 a155, v69
	;; [unrolled: 1-line block ×3, first 2 shown]
	v_fmac_f64_e32 v[44:45], v[34:35], v[38:39]
	v_accvgpr_write_b32 a144, v40
	v_accvgpr_write_b32 a143, v39
	;; [unrolled: 1-line block ×3, first 2 shown]
	v_fma_f64 v[74:75], v[28:29], v[46:47], -v[32:33]
	v_fmac_f64_e32 v[66:67], v[30:31], v[46:47]
	global_load_dwordx4 v[30:33], v[50:51], off offset:112
	global_load_dwordx4 v[34:37], v[50:51], off offset:96
	;; [unrolled: 1-line block ×4, first 2 shown]
	v_accvgpr_write_b32 a138, v46
	s_waitcnt vmcnt(3)
	v_accvgpr_write_b32 a129, v33
	s_waitcnt vmcnt(2) lgkmcnt(2)
	v_mul_f64 v[48:49], v[12:13], v[36:37]
	v_accvgpr_write_b32 a128, v32
	s_waitcnt vmcnt(0)
	v_mul_f64 v[28:29], v[26:27], v[70:71]
	v_fma_f64 v[54:55], v[24:25], v[68:69], -v[28:29]
	v_mul_f64 v[46:47], v[24:25], v[70:71]
	v_accvgpr_write_b32 a149, v71
	v_mul_f64 v[24:25], v[22:23], v[40:41]
	v_fmac_f64_e32 v[46:47], v[26:27], v[68:69]
	v_accvgpr_write_b32 a148, v70
	v_accvgpr_write_b32 a147, v69
	;; [unrolled: 1-line block ×3, first 2 shown]
	v_fma_f64 v[78:79], v[20:21], v[38:39], -v[24:25]
	v_mul_f64 v[68:69], v[20:21], v[40:41]
	v_mul_f64 v[20:21], v[14:15], v[36:37]
	v_fma_f64 v[56:57], v[12:13], v[34:35], -v[20:21]
	s_waitcnt lgkmcnt(1)
	v_mul_f64 v[12:13], v[10:11], v[32:33]
	v_mul_f64 v[70:71], v[8:9], v[32:33]
	v_fma_f64 v[88:89], v[8:9], v[30:31], -v[12:13]
	v_fmac_f64_e32 v[70:71], v[10:11], v[30:31]
	global_load_dwordx4 v[10:13], v[50:51], off offset:128
	v_accvgpr_write_b32 a127, v31
	v_accvgpr_write_b32 a126, v30
	v_accvgpr_write_b32 a137, v41
	v_fmac_f64_e32 v[68:69], v[22:23], v[38:39]
	v_accvgpr_write_b32 a136, v40
	v_accvgpr_write_b32 a135, v39
	v_accvgpr_write_b32 a134, v38
	v_accvgpr_write_b32 a133, v37
	v_fmac_f64_e32 v[48:49], v[14:15], v[34:35]
	v_accvgpr_write_b32 a132, v36
	v_accvgpr_write_b32 a131, v35
	;; [unrolled: 1-line block ×3, first 2 shown]
	v_add_f64 v[14:15], v[106:107], -v[96:97]
	s_waitcnt lgkmcnt(0)
	s_barrier
	s_waitcnt vmcnt(0)
	v_mul_f64 v[8:9], v[6:7], v[12:13]
	v_fma_f64 v[60:61], v[4:5], v[10:11], -v[8:9]
	v_mul_f64 v[50:51], v[4:5], v[12:13]
	v_add_f64 v[4:5], v[16:17], v[108:109]
	v_add_f64 v[4:5], v[4:5], v[110:111]
	;; [unrolled: 1-line block ×5, first 2 shown]
	v_accvgpr_write_b32 a125, v13
	v_fma_f64 v[30:31], -0.5, v[4:5], v[16:17]
	v_add_f64 v[4:5], v[102:103], -v[116:117]
	v_fmac_f64_e32 v[50:51], v[6:7], v[10:11]
	v_accvgpr_write_b32 a124, v12
	v_accvgpr_write_b32 a123, v11
	;; [unrolled: 1-line block ×3, first 2 shown]
	v_fma_f64 v[32:33], s[4:5], v[4:5], v[30:31]
	v_add_f64 v[6:7], v[104:105], -v[114:115]
	v_add_f64 v[8:9], v[108:109], -v[110:111]
	v_add_f64 v[10:11], v[120:121], -v[118:119]
	v_fmac_f64_e32 v[30:31], s[10:11], v[4:5]
	v_fmac_f64_e32 v[32:33], s[2:3], v[6:7]
	v_add_f64 v[8:9], v[8:9], v[10:11]
	v_fmac_f64_e32 v[30:31], s[12:13], v[6:7]
	v_fmac_f64_e32 v[32:33], s[8:9], v[8:9]
	v_fmac_f64_e32 v[30:31], s[8:9], v[8:9]
	v_add_f64 v[8:9], v[108:109], v[120:121]
	v_fmac_f64_e32 v[16:17], -0.5, v[8:9]
	v_fma_f64 v[38:39], s[10:11], v[6:7], v[16:17]
	v_fmac_f64_e32 v[16:17], s[4:5], v[6:7]
	v_fmac_f64_e32 v[38:39], s[2:3], v[4:5]
	v_fmac_f64_e32 v[16:17], s[12:13], v[4:5]
	v_add_f64 v[4:5], v[18:19], v[102:103]
	v_add_f64 v[4:5], v[4:5], v[104:105]
	v_add_f64 v[4:5], v[4:5], v[114:115]
	v_add_f64 v[8:9], v[110:111], -v[108:109]
	v_add_f64 v[10:11], v[118:119], -v[120:121]
	v_add_f64 v[34:35], v[4:5], v[116:117]
	v_add_f64 v[4:5], v[104:105], v[114:115]
	v_add_f64 v[8:9], v[8:9], v[10:11]
	v_fma_f64 v[122:123], -0.5, v[4:5], v[18:19]
	v_add_f64 v[4:5], v[108:109], -v[120:121]
	v_fmac_f64_e32 v[38:39], s[8:9], v[8:9]
	v_fmac_f64_e32 v[16:17], s[8:9], v[8:9]
	v_fma_f64 v[42:43], s[10:11], v[4:5], v[122:123]
	v_add_f64 v[6:7], v[110:111], -v[118:119]
	v_add_f64 v[8:9], v[102:103], -v[104:105]
	v_add_f64 v[10:11], v[116:117], -v[114:115]
	v_fmac_f64_e32 v[122:123], s[4:5], v[4:5]
	v_fmac_f64_e32 v[42:43], s[12:13], v[6:7]
	v_add_f64 v[8:9], v[8:9], v[10:11]
	v_fmac_f64_e32 v[122:123], s[2:3], v[6:7]
	v_fmac_f64_e32 v[42:43], s[8:9], v[8:9]
	v_fmac_f64_e32 v[122:123], s[8:9], v[8:9]
	v_add_f64 v[8:9], v[102:103], v[116:117]
	v_fmac_f64_e32 v[18:19], -0.5, v[8:9]
	v_fma_f64 v[108:109], s[4:5], v[6:7], v[18:19]
	v_fmac_f64_e32 v[18:19], s[10:11], v[6:7]
	v_fmac_f64_e32 v[108:109], s[12:13], v[4:5]
	v_fmac_f64_e32 v[18:19], s[2:3], v[4:5]
	v_add_f64 v[4:5], v[86:87], v[92:93]
	v_add_f64 v[4:5], v[4:5], v[84:85]
	v_add_f64 v[4:5], v[4:5], v[100:101]
	v_add_f64 v[8:9], v[104:105], -v[102:103]
	v_add_f64 v[10:11], v[114:115], -v[116:117]
	v_add_f64 v[36:37], v[4:5], v[112:113]
	v_add_f64 v[4:5], v[84:85], v[100:101]
	v_add_f64 v[8:9], v[8:9], v[10:11]
	v_fma_f64 v[22:23], -0.5, v[4:5], v[86:87]
	v_add_f64 v[4:5], v[90:91], -v[106:107]
	v_fmac_f64_e32 v[108:109], s[8:9], v[8:9]
	v_fmac_f64_e32 v[18:19], s[8:9], v[8:9]
	;; [unrolled: 28-line block ×3, first 2 shown]
	v_fma_f64 v[10:11], s[10:11], v[4:5], v[40:41]
	v_add_f64 v[8:9], v[84:85], -v[100:101]
	v_add_f64 v[12:13], v[90:91], -v[94:95]
	v_fmac_f64_e32 v[40:41], s[4:5], v[4:5]
	v_fmac_f64_e32 v[10:11], s[12:13], v[8:9]
	v_add_f64 v[12:13], v[12:13], v[14:15]
	v_fmac_f64_e32 v[40:41], s[2:3], v[8:9]
	v_fmac_f64_e32 v[10:11], s[8:9], v[12:13]
	;; [unrolled: 1-line block ×3, first 2 shown]
	v_add_f64 v[12:13], v[90:91], v[106:107]
	v_fmac_f64_e32 v[76:77], -0.5, v[12:13]
	v_fma_f64 v[84:85], s[4:5], v[8:9], v[76:77]
	v_add_f64 v[12:13], v[94:95], -v[90:91]
	v_add_f64 v[14:15], v[96:97], -v[106:107]
	v_fmac_f64_e32 v[76:77], s[10:11], v[8:9]
	v_fmac_f64_e32 v[84:85], s[12:13], v[4:5]
	v_add_f64 v[12:13], v[12:13], v[14:15]
	v_fmac_f64_e32 v[76:77], s[2:3], v[4:5]
	v_fmac_f64_e32 v[84:85], s[8:9], v[12:13]
	;; [unrolled: 1-line block ×3, first 2 shown]
	v_mul_f64 v[94:95], v[86:87], s[16:17]
	v_mul_f64 v[104:105], v[26:27], s[10:11]
	;; [unrolled: 1-line block ×3, first 2 shown]
	v_fmac_f64_e32 v[94:95], s[4:5], v[76:77]
	v_mul_f64 v[100:101], v[6:7], s[12:13]
	v_fmac_f64_e32 v[104:105], s[8:9], v[84:85]
	v_mul_f64 v[76:77], v[76:77], s[16:17]
	v_mul_f64 v[84:85], v[40:41], s[14:15]
	v_fmac_f64_e32 v[92:93], s[8:9], v[26:27]
	v_fmac_f64_e32 v[100:101], s[18:19], v[10:11]
	;; [unrolled: 1-line block ×4, first 2 shown]
	v_add_f64 v[12:13], v[28:29], v[36:37]
	v_mul_f64 v[90:91], v[10:11], s[2:3]
	v_add_f64 v[4:5], v[38:39], v[92:93]
	v_mul_f64 v[96:97], v[22:23], s[14:15]
	v_add_f64 v[14:15], v[34:35], v[102:103]
	v_add_f64 v[10:11], v[42:43], v[100:101]
	v_add_f64 v[26:27], v[18:19], v[76:77]
	v_add_f64 v[22:23], v[122:123], v[84:85]
	v_add_f64 v[36:37], v[28:29], -v[36:37]
	v_add_f64 v[28:29], v[38:39], -v[92:93]
	;; [unrolled: 1-line block ×6, first 2 shown]
	v_add_f64 v[84:85], v[74:75], v[78:79]
	v_fmac_f64_e32 v[90:91], s[18:19], v[6:7]
	v_fmac_f64_e32 v[96:97], s[2:3], v[40:41]
	v_fma_f64 v[84:85], -0.5, v[84:85], v[0:1]
	v_add_f64 v[86:87], v[64:65], -v[70:71]
	v_add_f64 v[8:9], v[32:33], v[90:91]
	v_add_f64 v[24:25], v[16:17], v[94:95]
	;; [unrolled: 1-line block ×3, first 2 shown]
	v_add_f64 v[32:33], v[32:33], -v[90:91]
	v_add_f64 v[40:41], v[16:17], -v[94:95]
	;; [unrolled: 1-line block ×3, first 2 shown]
	v_fma_f64 v[90:91], s[4:5], v[86:87], v[84:85]
	v_add_f64 v[92:93], v[66:67], -v[68:69]
	v_add_f64 v[94:95], v[72:73], -v[74:75]
	;; [unrolled: 1-line block ×3, first 2 shown]
	v_fmac_f64_e32 v[84:85], s[10:11], v[86:87]
	v_fmac_f64_e32 v[90:91], s[2:3], v[92:93]
	v_add_f64 v[94:95], v[94:95], v[96:97]
	v_fmac_f64_e32 v[84:85], s[12:13], v[92:93]
	v_fmac_f64_e32 v[90:91], s[8:9], v[94:95]
	;; [unrolled: 1-line block ×3, first 2 shown]
	v_add_f64 v[94:95], v[72:73], v[88:89]
	v_add_f64 v[76:77], v[0:1], v[72:73]
	v_fmac_f64_e32 v[0:1], -0.5, v[94:95]
	v_fma_f64 v[94:95], s[10:11], v[92:93], v[0:1]
	v_fmac_f64_e32 v[0:1], s[4:5], v[92:93]
	v_fmac_f64_e32 v[94:95], s[2:3], v[86:87]
	;; [unrolled: 1-line block ×3, first 2 shown]
	v_add_f64 v[86:87], v[2:3], v[64:65]
	v_add_f64 v[86:87], v[86:87], v[66:67]
	;; [unrolled: 1-line block ×4, first 2 shown]
	v_add_f64 v[96:97], v[74:75], -v[72:73]
	v_add_f64 v[100:101], v[78:79], -v[88:89]
	v_add_f64 v[92:93], v[86:87], v[70:71]
	v_add_f64 v[86:87], v[66:67], v[68:69]
	;; [unrolled: 1-line block ×4, first 2 shown]
	v_fma_f64 v[86:87], -0.5, v[86:87], v[2:3]
	v_add_f64 v[72:73], v[72:73], -v[88:89]
	v_add_f64 v[76:77], v[76:77], v[88:89]
	v_fmac_f64_e32 v[94:95], s[8:9], v[96:97]
	v_fmac_f64_e32 v[0:1], s[8:9], v[96:97]
	v_fma_f64 v[96:97], s[10:11], v[72:73], v[86:87]
	v_add_f64 v[74:75], v[74:75], -v[78:79]
	v_add_f64 v[78:79], v[64:65], -v[66:67]
	;; [unrolled: 1-line block ×3, first 2 shown]
	v_fmac_f64_e32 v[86:87], s[4:5], v[72:73]
	v_fmac_f64_e32 v[96:97], s[12:13], v[74:75]
	v_add_f64 v[78:79], v[78:79], v[88:89]
	v_fmac_f64_e32 v[86:87], s[2:3], v[74:75]
	v_fmac_f64_e32 v[96:97], s[8:9], v[78:79]
	;; [unrolled: 1-line block ×3, first 2 shown]
	v_add_f64 v[78:79], v[64:65], v[70:71]
	v_add_f64 v[64:65], v[66:67], -v[64:65]
	v_add_f64 v[66:67], v[68:69], -v[70:71]
	v_fmac_f64_e32 v[2:3], -0.5, v[78:79]
	v_add_f64 v[64:65], v[64:65], v[66:67]
	v_add_f64 v[66:67], v[54:55], v[56:57]
	v_fma_f64 v[78:79], s[4:5], v[74:75], v[2:3]
	v_fmac_f64_e32 v[2:3], s[10:11], v[74:75]
	v_fma_f64 v[66:67], -0.5, v[66:67], v[58:59]
	v_add_f64 v[68:69], v[44:45], -v[50:51]
	v_fmac_f64_e32 v[78:79], s[12:13], v[72:73]
	v_fmac_f64_e32 v[2:3], s[2:3], v[72:73]
	v_fma_f64 v[72:73], s[4:5], v[68:69], v[66:67]
	v_add_f64 v[70:71], v[46:47], -v[48:49]
	v_add_f64 v[74:75], v[52:53], -v[54:55]
	;; [unrolled: 1-line block ×3, first 2 shown]
	v_fmac_f64_e32 v[66:67], s[10:11], v[68:69]
	v_fmac_f64_e32 v[72:73], s[2:3], v[70:71]
	v_add_f64 v[74:75], v[74:75], v[88:89]
	v_fmac_f64_e32 v[66:67], s[12:13], v[70:71]
	v_fmac_f64_e32 v[72:73], s[8:9], v[74:75]
	;; [unrolled: 1-line block ×3, first 2 shown]
	v_add_f64 v[74:75], v[52:53], v[60:61]
	v_fmac_f64_e32 v[78:79], s[8:9], v[64:65]
	v_fmac_f64_e32 v[2:3], s[8:9], v[64:65]
	v_add_f64 v[64:65], v[58:59], v[52:53]
	v_fmac_f64_e32 v[58:59], -0.5, v[74:75]
	v_fma_f64 v[74:75], s[10:11], v[70:71], v[58:59]
	v_fmac_f64_e32 v[58:59], s[4:5], v[70:71]
	v_fmac_f64_e32 v[74:75], s[2:3], v[68:69]
	v_fmac_f64_e32 v[58:59], s[12:13], v[68:69]
	v_add_f64 v[68:69], v[62:63], v[44:45]
	v_add_f64 v[68:69], v[68:69], v[46:47]
	;; [unrolled: 1-line block ×4, first 2 shown]
	v_add_f64 v[88:89], v[54:55], -v[52:53]
	v_add_f64 v[100:101], v[56:57], -v[60:61]
	v_add_f64 v[70:71], v[68:69], v[50:51]
	v_add_f64 v[68:69], v[46:47], v[48:49]
	;; [unrolled: 1-line block ×4, first 2 shown]
	v_fma_f64 v[68:69], -0.5, v[68:69], v[62:63]
	v_add_f64 v[52:53], v[52:53], -v[60:61]
	v_add_f64 v[64:65], v[64:65], v[60:61]
	v_fmac_f64_e32 v[74:75], s[8:9], v[88:89]
	v_fmac_f64_e32 v[58:59], s[8:9], v[88:89]
	v_fma_f64 v[88:89], s[10:11], v[52:53], v[68:69]
	v_add_f64 v[54:55], v[54:55], -v[56:57]
	v_add_f64 v[56:57], v[44:45], -v[46:47]
	;; [unrolled: 1-line block ×3, first 2 shown]
	v_fmac_f64_e32 v[68:69], s[4:5], v[52:53]
	v_fmac_f64_e32 v[88:89], s[12:13], v[54:55]
	v_add_f64 v[56:57], v[56:57], v[60:61]
	v_fmac_f64_e32 v[68:69], s[2:3], v[54:55]
	v_fmac_f64_e32 v[88:89], s[8:9], v[56:57]
	;; [unrolled: 1-line block ×3, first 2 shown]
	v_add_f64 v[56:57], v[44:45], v[50:51]
	v_fmac_f64_e32 v[62:63], -0.5, v[56:57]
	v_fma_f64 v[100:101], s[4:5], v[54:55], v[62:63]
	v_add_f64 v[44:45], v[46:47], -v[44:45]
	v_add_f64 v[46:47], v[48:49], -v[50:51]
	v_fmac_f64_e32 v[62:63], s[10:11], v[54:55]
	v_fmac_f64_e32 v[100:101], s[12:13], v[52:53]
	v_add_f64 v[44:45], v[44:45], v[46:47]
	v_fmac_f64_e32 v[62:63], s[2:3], v[52:53]
	v_mul_f64 v[102:103], v[88:89], s[2:3]
	v_add_f64 v[6:7], v[108:109], v[104:105]
	v_add_f64 v[30:31], v[108:109], -v[104:105]
	v_fmac_f64_e32 v[100:101], s[8:9], v[44:45]
	v_fmac_f64_e32 v[62:63], s[8:9], v[44:45]
	;; [unrolled: 1-line block ×3, first 2 shown]
	v_mul_f64 v[106:107], v[58:59], s[16:17]
	v_mul_f64 v[108:109], v[66:67], s[14:15]
	;; [unrolled: 1-line block ×4, first 2 shown]
	v_add_f64 v[48:49], v[90:91], v[102:103]
	v_mul_f64 v[104:105], v[100:101], s[4:5]
	v_fmac_f64_e32 v[106:107], s[4:5], v[62:63]
	v_fmac_f64_e32 v[108:109], s[2:3], v[68:69]
	;; [unrolled: 1-line block ×4, first 2 shown]
	v_mul_f64 v[100:101], v[62:63], s[16:17]
	v_mul_f64 v[88:89], v[68:69], s[14:15]
	v_add_f64 v[68:69], v[90:91], -v[102:103]
	v_cndmask_b32_e32 v90, v81, v98, vcc
	v_add_f64 v[52:53], v[76:77], v[64:65]
	v_fmac_f64_e32 v[104:105], s[8:9], v[74:75]
	v_add_f64 v[60:61], v[0:1], v[106:107]
	v_add_f64 v[56:57], v[84:85], v[108:109]
	v_fmac_f64_e32 v[100:101], s[10:11], v[58:59]
	v_fmac_f64_e32 v[88:89], s[12:13], v[66:67]
	v_add_f64 v[72:73], v[76:77], -v[64:65]
	v_add_f64 v[76:77], v[0:1], -v[106:107]
	;; [unrolled: 1-line block ×3, first 2 shown]
	ds_write_b128 v99, v[12:15]
	ds_write_b128 v99, v[8:11] offset:160
	ds_write_b128 v99, v[4:7] offset:320
	;; [unrolled: 1-line block ×9, first 2 shown]
	v_mad_legacy_u16 v4, v124, s22, v125
	v_mul_hi_i32_i24_e32 v85, 48, v90
	v_mul_i32_i24_e32 v84, 48, v90
	v_add_f64 v[44:45], v[94:95], v[104:105]
	v_add_f64 v[54:55], v[92:93], v[70:71]
	;; [unrolled: 1-line block ×6, first 2 shown]
	v_add_f64 v[64:65], v[94:95], -v[104:105]
	v_add_f64 v[74:75], v[92:93], -v[70:71]
	;; [unrolled: 1-line block ×6, first 2 shown]
	v_lshlrev_b32_e32 v104, 4, v4
	v_lshl_add_u64 v[84:85], s[6:7], 0, v[84:85]
	ds_write_b128 v104, v[52:55]
	ds_write_b128 v104, v[48:51] offset:160
	ds_write_b128 v104, v[44:47] offset:320
	;; [unrolled: 1-line block ×9, first 2 shown]
	s_waitcnt lgkmcnt(0)
	s_barrier
	ds_read_b128 v[16:19], v172
	ds_read_b128 v[76:79], v172 offset:12800
	ds_read_b128 v[72:75], v172 offset:25600
	;; [unrolled: 1-line block ×19, first 2 shown]
	global_load_dwordx4 v[86:89], v[84:85], off offset:1472
	global_load_dwordx4 v[92:95], v[84:85], off offset:1456
	;; [unrolled: 1-line block ×3, first 2 shown]
	s_movk_i32 s22, 0x63
	v_cmp_lt_u16_e32 vcc, s22, v98
	s_movk_i32 s22, 0x190
	s_waitcnt vmcnt(2)
	v_accvgpr_write_b32 a161, v89
	s_waitcnt vmcnt(1)
	v_accvgpr_write_b32 a165, v95
	s_waitcnt vmcnt(0) lgkmcnt(14)
	v_mul_f64 v[84:85], v[78:79], v[102:103]
	v_fma_f64 v[84:85], v[76:77], v[100:101], -v[84:85]
	v_mul_f64 v[76:77], v[76:77], v[102:103]
	v_fmac_f64_e32 v[76:77], v[78:79], v[100:101]
	v_mul_f64 v[78:79], v[74:75], v[94:95]
	v_fma_f64 v[78:79], v[72:73], v[92:93], -v[78:79]
	v_mul_f64 v[72:73], v[72:73], v[94:95]
	v_fmac_f64_e32 v[72:73], v[74:75], v[92:93]
	;; [unrolled: 4-line block ×3, first 2 shown]
	v_lshrrev_b16_e32 v70, 2, v82
	v_mul_u32_u24_e32 v70, 0x147b, v70
	v_lshrrev_b32_e32 v81, 17, v70
	v_mul_lo_u16_e32 v70, 0x64, v81
	v_sub_u16_e32 v91, v82, v70
	v_mul_lo_u16_e32 v70, 48, v91
	v_mov_b32_e32 v71, v173
	v_accvgpr_write_b32 a169, v103
	v_lshl_add_u64 v[70:71], s[6:7], 0, v[70:71]
	v_accvgpr_write_b32 a168, v102
	v_accvgpr_write_b32 a167, v101
	;; [unrolled: 1-line block ×6, first 2 shown]
	global_load_dwordx4 v[92:95], v[70:71], off offset:1472
	global_load_dwordx4 v[100:103], v[70:71], off offset:1456
	;; [unrolled: 1-line block ×3, first 2 shown]
	v_accvgpr_write_b32 a160, v88
	v_accvgpr_write_b32 a159, v87
	;; [unrolled: 1-line block ×3, first 2 shown]
	s_waitcnt vmcnt(2)
	v_accvgpr_write_b32 a173, v95
	v_accvgpr_write_b32 a172, v94
	s_waitcnt vmcnt(0)
	v_mul_f64 v[70:71], v[66:67], v[108:109]
	v_fma_f64 v[82:83], v[64:65], v[106:107], -v[70:71]
	v_mul_f64 v[86:87], v[64:65], v[108:109]
	s_waitcnt lgkmcnt(13)
	v_mul_f64 v[64:65], v[62:63], v[102:103]
	v_fma_f64 v[88:89], v[60:61], v[100:101], -v[64:65]
	v_mul_f64 v[60:61], v[60:61], v[102:103]
	v_fmac_f64_e32 v[60:61], v[62:63], v[100:101]
	s_waitcnt lgkmcnt(12)
	v_mul_f64 v[62:63], v[58:59], v[94:95]
	v_fma_f64 v[62:63], v[56:57], v[92:93], -v[62:63]
	v_mul_f64 v[56:57], v[56:57], v[94:95]
	v_fmac_f64_e32 v[56:57], v[58:59], v[92:93]
	v_lshrrev_b16_e32 v58, 2, v80
	v_mul_u32_u24_e32 v58, 0x147b, v58
	v_accvgpr_write_b32 a171, v93
	v_accvgpr_write_b32 a170, v92
	v_lshrrev_b32_e32 v92, 17, v58
	v_mul_lo_u16_e32 v58, 0x64, v92
	v_sub_u16_e32 v93, v80, v58
	v_mul_lo_u16_e32 v58, 48, v93
	v_mov_b32_e32 v59, v173
	v_lshl_add_u64 v[58:59], s[6:7], 0, v[58:59]
	global_load_dwordx4 v[176:179], v[58:59], off offset:1472
	global_load_dwordx4 v[180:183], v[58:59], off offset:1456
	;; [unrolled: 1-line block ×3, first 2 shown]
	v_accvgpr_write_b32 a177, v103
	v_accvgpr_write_b32 a181, v109
	;; [unrolled: 1-line block ×5, first 2 shown]
	v_fmac_f64_e32 v[86:87], v[66:67], v[106:107]
	v_accvgpr_write_b32 a180, v108
	v_accvgpr_write_b32 a179, v107
	;; [unrolled: 1-line block ×3, first 2 shown]
	s_waitcnt vmcnt(1) lgkmcnt(9)
	v_mul_f64 v[108:109], v[48:49], v[182:183]
	s_waitcnt vmcnt(0)
	v_mul_f64 v[58:59], v[54:55], v[186:187]
	v_fma_f64 v[100:101], v[52:53], v[184:185], -v[58:59]
	v_mul_f64 v[102:103], v[52:53], v[186:187]
	v_mul_f64 v[52:53], v[50:51], v[182:183]
	v_fma_f64 v[106:107], v[48:49], v[180:181], -v[52:53]
	s_waitcnt lgkmcnt(8)
	v_mul_f64 v[48:49], v[46:47], v[178:179]
	v_fma_f64 v[110:111], v[44:45], v[176:177], -v[48:49]
	v_mul_f64 v[44:45], v[44:45], v[178:179]
	v_fmac_f64_e32 v[44:45], v[46:47], v[176:177]
	v_add_u16_e32 v46, 0x1e0, v98
	v_lshrrev_b16_e32 v47, 2, v46
	v_mul_u32_u24_e32 v47, 0x147b, v47
	v_lshrrev_b32_e32 v94, 17, v47
	v_mul_lo_u16_e32 v47, 0x64, v94
	v_sub_u16_e32 v95, v46, v47
	v_mul_lo_u16_e32 v46, 48, v95
	v_mov_b32_e32 v47, v173
	v_lshl_add_u64 v[46:47], s[6:7], 0, v[46:47]
	global_load_dwordx4 v[188:191], v[46:47], off offset:1472
	global_load_dwordx4 v[192:195], v[46:47], off offset:1456
	global_load_dwordx4 v[196:199], v[46:47], off offset:1440
	v_fmac_f64_e32 v[102:103], v[54:55], v[184:185]
	v_fmac_f64_e32 v[108:109], v[50:51], v[180:181]
	s_waitcnt vmcnt(2) lgkmcnt(4)
	v_mul_f64 v[122:123], v[32:33], v[190:191]
	s_waitcnt vmcnt(1)
	v_mul_f64 v[118:119], v[36:37], v[194:195]
	s_waitcnt vmcnt(0)
	v_mul_f64 v[46:47], v[42:43], v[198:199]
	v_fma_f64 v[112:113], v[40:41], v[196:197], -v[46:47]
	v_mul_f64 v[114:115], v[40:41], v[198:199]
	v_mul_f64 v[40:41], v[38:39], v[194:195]
	v_fma_f64 v[116:117], v[36:37], v[192:193], -v[40:41]
	v_mul_f64 v[36:37], v[34:35], v[190:191]
	v_fma_f64 v[120:121], v[32:33], v[188:189], -v[36:37]
	v_add_u16_e32 v32, 0x280, v98
	v_lshrrev_b16_e32 v33, 2, v32
	v_mul_u32_u24_e32 v33, 0x147b, v33
	v_lshrrev_b32_e32 v96, 17, v33
	v_mul_lo_u16_e32 v33, 0x64, v96
	v_sub_u16_e32 v97, v32, v33
	v_mul_lo_u16_e32 v32, 48, v97
	v_mov_b32_e32 v33, v173
	v_lshl_add_u64 v[32:33], s[6:7], 0, v[32:33]
	global_load_dwordx4 v[200:203], v[32:33], off offset:1472
	global_load_dwordx4 v[204:207], v[32:33], off offset:1456
	;; [unrolled: 1-line block ×3, first 2 shown]
	v_fmac_f64_e32 v[114:115], v[42:43], v[196:197]
	v_fmac_f64_e32 v[118:119], v[38:39], v[192:193]
	;; [unrolled: 1-line block ×3, first 2 shown]
	s_waitcnt lgkmcnt(0)
	s_barrier
	s_waitcnt vmcnt(2)
	v_mul_f64 v[136:137], v[20:21], v[202:203]
	s_waitcnt vmcnt(1)
	v_mul_f64 v[132:133], v[24:25], v[206:207]
	s_waitcnt vmcnt(0)
	v_mul_f64 v[32:33], v[30:31], v[210:211]
	v_fma_f64 v[124:125], v[28:29], v[208:209], -v[32:33]
	v_mul_f64 v[126:127], v[28:29], v[210:211]
	v_mul_f64 v[28:29], v[26:27], v[206:207]
	v_fma_f64 v[130:131], v[24:25], v[204:205], -v[28:29]
	v_fmac_f64_e32 v[132:133], v[26:27], v[204:205]
	v_mul_f64 v[24:25], v[22:23], v[202:203]
	v_fmac_f64_e32 v[136:137], v[22:23], v[200:201]
	v_add_f64 v[22:23], v[18:19], -v[72:73]
	v_add_f64 v[26:27], v[76:77], -v[68:69]
	v_fmac_f64_e32 v[126:127], v[30:31], v[208:209]
	v_fma_f64 v[134:135], v[20:21], v[200:201], -v[24:25]
	v_fma_f64 v[18:19], v[18:19], 2.0, -v[22:23]
	v_add_f64 v[24:25], v[84:85], -v[74:75]
	v_fma_f64 v[30:31], v[76:77], 2.0, -v[26:27]
	v_add_f64 v[20:21], v[16:17], -v[78:79]
	v_add_f64 v[66:67], v[18:19], -v[30:31]
	v_add_f64 v[70:71], v[22:23], v[24:25]
	v_fma_f64 v[16:17], v[16:17], 2.0, -v[20:21]
	v_fma_f64 v[28:29], v[84:85], 2.0, -v[24:25]
	;; [unrolled: 1-line block ×3, first 2 shown]
	v_add_f64 v[68:69], v[20:21], -v[26:27]
	v_fma_f64 v[74:75], v[22:23], 2.0, -v[70:71]
	v_add_f64 v[18:19], v[14:15], -v[60:61]
	v_add_f64 v[22:23], v[86:87], -v[56:57]
	;; [unrolled: 1-line block ×3, first 2 shown]
	v_fma_f64 v[72:73], v[20:21], 2.0, -v[68:69]
	v_fma_f64 v[14:15], v[14:15], 2.0, -v[18:19]
	v_add_f64 v[20:21], v[82:83], -v[62:63]
	v_fma_f64 v[26:27], v[86:87], 2.0, -v[22:23]
	v_fma_f64 v[76:77], v[16:17], 2.0, -v[64:65]
	v_add_f64 v[16:17], v[12:13], -v[88:89]
	v_add_f64 v[54:55], v[14:15], -v[26:27]
	v_add_f64 v[50:51], v[18:19], v[20:21]
	v_fma_f64 v[12:13], v[12:13], 2.0, -v[16:17]
	v_fma_f64 v[24:25], v[82:83], 2.0, -v[20:21]
	;; [unrolled: 1-line block ×3, first 2 shown]
	v_add_f64 v[48:49], v[16:17], -v[22:23]
	v_fma_f64 v[58:59], v[18:19], 2.0, -v[50:51]
	v_add_f64 v[14:15], v[10:11], -v[108:109]
	v_add_f64 v[18:19], v[102:103], -v[44:45]
	;; [unrolled: 1-line block ×3, first 2 shown]
	v_fma_f64 v[56:57], v[16:17], 2.0, -v[48:49]
	v_fma_f64 v[10:11], v[10:11], 2.0, -v[14:15]
	v_add_f64 v[16:17], v[100:101], -v[110:111]
	v_fma_f64 v[22:23], v[102:103], 2.0, -v[18:19]
	v_fma_f64 v[60:61], v[12:13], 2.0, -v[52:53]
	v_add_f64 v[12:13], v[8:9], -v[106:107]
	v_add_f64 v[38:39], v[10:11], -v[22:23]
	v_add_f64 v[34:35], v[14:15], v[16:17]
	v_fma_f64 v[46:47], v[10:11], 2.0, -v[38:39]
	v_add_f64 v[32:33], v[12:13], -v[18:19]
	v_fma_f64 v[42:43], v[14:15], 2.0, -v[34:35]
	v_add_f64 v[10:11], v[6:7], -v[118:119]
	v_add_f64 v[14:15], v[114:115], -v[122:123]
	v_fma_f64 v[8:9], v[8:9], 2.0, -v[12:13]
	v_fma_f64 v[20:21], v[100:101], 2.0, -v[16:17]
	v_fma_f64 v[40:41], v[12:13], 2.0, -v[32:33]
	v_fma_f64 v[6:7], v[6:7], 2.0, -v[10:11]
	v_add_f64 v[12:13], v[112:113], -v[120:121]
	v_fma_f64 v[18:19], v[114:115], 2.0, -v[14:15]
	v_add_f64 v[36:37], v[8:9], -v[20:21]
	v_add_f64 v[22:23], v[6:7], -v[18:19]
	v_add_f64 v[18:19], v[10:11], v[12:13]
	v_fma_f64 v[44:45], v[8:9], 2.0, -v[36:37]
	v_add_f64 v[8:9], v[4:5], -v[116:117]
	v_fma_f64 v[26:27], v[10:11], 2.0, -v[18:19]
	v_add_f64 v[10:11], v[2:3], -v[132:133]
	v_add_f64 v[84:85], v[126:127], -v[136:137]
	v_fma_f64 v[4:5], v[4:5], 2.0, -v[8:9]
	v_fma_f64 v[16:17], v[112:113], 2.0, -v[12:13]
	v_fma_f64 v[30:31], v[6:7], 2.0, -v[22:23]
	v_fma_f64 v[2:3], v[2:3], 2.0, -v[10:11]
	v_fma_f64 v[6:7], v[126:127], 2.0, -v[84:85]
	v_add_f64 v[20:21], v[4:5], -v[16:17]
	v_add_f64 v[82:83], v[124:125], -v[134:135]
	;; [unrolled: 1-line block ×3, first 2 shown]
	v_fma_f64 v[28:29], v[4:5], 2.0, -v[20:21]
	v_add_f64 v[16:17], v[8:9], -v[14:15]
	v_fma_f64 v[4:5], v[124:125], 2.0, -v[82:83]
	v_fma_f64 v[14:15], v[2:3], 2.0, -v[6:7]
	v_add_f64 v[2:3], v[10:11], v[82:83]
	v_mov_b32_e32 v82, 0x190
	v_cndmask_b32_e32 v82, 0, v82, vcc
	v_add_lshl_u32 v127, v90, v82, 4
	ds_write_b128 v127, v[76:79]
	ds_write_b128 v127, v[72:75] offset:1600
	ds_write_b128 v127, v[64:67] offset:3200
	;; [unrolled: 1-line block ×3, first 2 shown]
	v_mad_legacy_u16 v64, v81, s22, v91
	v_lshlrev_b32_e32 v64, 4, v64
	ds_write_b128 v64, v[60:63]
	ds_write_b128 v64, v[56:59] offset:1600
	ds_write_b128 v64, v[52:55] offset:3200
	;; [unrolled: 1-line block ×3, first 2 shown]
	v_mad_legacy_u16 v48, v92, s22, v93
	v_fma_f64 v[24:25], v[8:9], 2.0, -v[16:17]
	v_add_f64 v[8:9], v[0:1], -v[130:131]
	v_lshlrev_b32_e32 v48, 4, v48
	v_fma_f64 v[0:1], v[0:1], 2.0, -v[8:9]
	ds_write_b128 v48, v[44:47]
	ds_write_b128 v48, v[40:43] offset:1600
	ds_write_b128 v48, v[36:39] offset:3200
	ds_write_b128 v48, v[32:35] offset:4800
	v_mad_legacy_u16 v32, v94, s22, v95
	v_add_f64 v[4:5], v[0:1], -v[4:5]
	v_lshlrev_b32_e32 v32, 4, v32
	v_fma_f64 v[12:13], v[0:1], 2.0, -v[4:5]
	v_add_f64 v[0:1], v[8:9], -v[84:85]
	ds_write_b128 v32, v[28:31]
	ds_write_b128 v32, v[24:27] offset:1600
	ds_write_b128 v32, v[20:23] offset:3200
	;; [unrolled: 1-line block ×3, first 2 shown]
	v_mad_legacy_u16 v16, v96, s22, v97
	v_mad_u64_u32 v[84:85], s[22:23], v98, 48, s[6:7]
	v_add_co_u32_e32 v86, vcc, s24, v84
	v_fma_f64 v[8:9], v[8:9], 2.0, -v[0:1]
	v_fma_f64 v[10:11], v[10:11], 2.0, -v[2:3]
	v_lshlrev_b32_e32 v126, 4, v16
	s_mov_b64 s[22:23], 0x1860
	v_addc_co_u32_e32 v87, vcc, 0, v85, vcc
	v_accvgpr_write_b32 a183, v64
	v_accvgpr_write_b32 a182, v48
	;; [unrolled: 1-line block ×3, first 2 shown]
	ds_write_b128 v126, v[12:15]
	ds_write_b128 v126, v[8:11] offset:1600
	ds_write_b128 v126, v[4:7] offset:3200
	;; [unrolled: 1-line block ×3, first 2 shown]
	s_waitcnt lgkmcnt(0)
	s_barrier
	ds_read_b128 v[16:19], v172
	ds_read_b128 v[76:79], v172 offset:12800
	ds_read_b128 v[72:75], v172 offset:25600
	;; [unrolled: 1-line block ×19, first 2 shown]
	v_lshl_add_u64 v[82:83], v[84:85], 0, s[22:23]
	global_load_dwordx4 v[220:223], v[86:87], off offset:2144
	global_load_dwordx4 v[212:215], v[82:83], off offset:32
	;; [unrolled: 1-line block ×3, first 2 shown]
	v_add_co_u32_e32 v86, vcc, s26, v84
	s_waitcnt vmcnt(2) lgkmcnt(14)
	v_mul_f64 v[82:83], v[78:79], v[222:223]
	v_fma_f64 v[82:83], v[76:77], v[220:221], -v[82:83]
	v_mul_f64 v[76:77], v[76:77], v[222:223]
	v_fmac_f64_e32 v[76:77], v[78:79], v[220:221]
	s_waitcnt vmcnt(0)
	v_mul_f64 v[78:79], v[74:75], v[218:219]
	v_fma_f64 v[78:79], v[72:73], v[216:217], -v[78:79]
	v_mul_f64 v[72:73], v[72:73], v[218:219]
	v_fmac_f64_e32 v[72:73], v[74:75], v[216:217]
	v_mul_f64 v[74:75], v[70:71], v[214:215]
	v_fma_f64 v[74:75], v[68:69], v[212:213], -v[74:75]
	v_mul_f64 v[68:69], v[68:69], v[214:215]
	v_addc_co_u32_e32 v87, vcc, 0, v85, vcc
	v_fmac_f64_e32 v[68:69], v[70:71], v[212:213]
	v_lshl_add_u64 v[70:71], v[84:85], 0, s[36:37]
	global_load_dwordx4 v[228:231], v[86:87], off offset:1632
	global_load_dwordx4 v[224:227], v[70:71], off offset:32
	global_load_dwordx4 v[232:235], v[70:71], off offset:16
	s_movk_i32 s36, 0x50
	v_cmp_gt_u16_e32 vcc, s36, v98
	s_waitcnt vmcnt(2)
	v_mul_f64 v[70:71], v[66:67], v[230:231]
	v_fma_f64 v[86:87], v[64:65], v[228:229], -v[70:71]
	v_mul_f64 v[88:89], v[64:65], v[230:231]
	s_waitcnt vmcnt(0) lgkmcnt(13)
	v_mul_f64 v[64:65], v[62:63], v[234:235]
	v_fma_f64 v[90:91], v[60:61], v[232:233], -v[64:65]
	v_mul_f64 v[60:61], v[60:61], v[234:235]
	v_fmac_f64_e32 v[60:61], v[62:63], v[232:233]
	s_waitcnt lgkmcnt(12)
	v_mul_f64 v[62:63], v[58:59], v[226:227]
	v_fma_f64 v[62:63], v[56:57], v[224:225], -v[62:63]
	v_mul_f64 v[56:57], v[56:57], v[226:227]
	v_fmac_f64_e32 v[56:57], v[58:59], v[224:225]
	v_add_u32_e32 v58, 0xffffffb0, v98
	v_cndmask_b32_e32 v102, v58, v80, vcc
	v_mul_hi_i32_i24_e32 v59, 48, v102
	v_mul_i32_i24_e32 v58, 48, v102
	v_lshl_add_u64 v[58:59], s[6:7], 0, v[58:59]
	v_lshl_add_u64 v[64:65], v[58:59], 0, s[22:23]
	v_add_co_u32_e32 v58, vcc, s24, v58
	s_mov_b64 s[22:23], 0x2760
	s_nop 0
	v_addc_co_u32_e32 v59, vcc, 0, v59, vcc
	global_load_dwordx4 v[244:247], v[58:59], off offset:2144
	global_load_dwordx4 v[236:239], v[64:65], off offset:32
	;; [unrolled: 1-line block ×3, first 2 shown]
	v_fmac_f64_e32 v[88:89], v[66:67], v[228:229]
	s_waitcnt vmcnt(2) lgkmcnt(10)
	v_mul_f64 v[58:59], v[54:55], v[246:247]
	v_fma_f64 v[80:81], v[52:53], v[244:245], -v[58:59]
	v_mul_f64 v[92:93], v[52:53], v[246:247]
	s_waitcnt vmcnt(0) lgkmcnt(9)
	v_mul_f64 v[52:53], v[50:51], v[242:243]
	v_fma_f64 v[94:95], v[48:49], v[240:241], -v[52:53]
	v_mul_f64 v[96:97], v[48:49], v[242:243]
	s_waitcnt lgkmcnt(8)
	v_mul_f64 v[48:49], v[46:47], v[238:239]
	v_fma_f64 v[100:101], v[44:45], v[236:237], -v[48:49]
	v_add_co_u32_e32 v48, vcc, s25, v84
	v_mul_f64 v[44:45], v[44:45], v[238:239]
	s_nop 0
	v_addc_co_u32_e32 v49, vcc, 0, v85, vcc
	v_fmac_f64_e32 v[44:45], v[46:47], v[236:237]
	v_lshl_add_u64 v[46:47], v[84:85], 0, s[22:23]
	global_load_dwordx4 v[252:255], v[48:49], off offset:1888
	global_load_dwordx4 v[248:251], v[46:47], off offset:32
	;; [unrolled: 1-line block ×3, first 2 shown]
	s_mov_b64 s[22:23], 0x4560
	v_fmac_f64_e32 v[92:93], v[54:55], v[244:245]
	v_fmac_f64_e32 v[96:97], v[50:51], v[240:241]
	s_waitcnt vmcnt(2) lgkmcnt(6)
	v_mul_f64 v[46:47], v[42:43], v[254:255]
	v_fma_f64 v[106:107], v[40:41], v[252:253], -v[46:47]
	v_mul_f64 v[108:109], v[40:41], v[254:255]
	s_waitcnt vmcnt(0) lgkmcnt(5)
	v_mul_f64 v[40:41], v[38:39], v[170:171]
	s_waitcnt lgkmcnt(4)
	v_mul_f64 v[116:117], v[32:33], v[250:251]
	v_fma_f64 v[110:111], v[36:37], v[168:169], -v[40:41]
	v_mul_f64 v[112:113], v[36:37], v[170:171]
	v_mul_f64 v[36:37], v[34:35], v[250:251]
	v_fmac_f64_e32 v[116:117], v[34:35], v[248:249]
	v_add_co_u32_e32 v34, vcc, s31, v84
	v_fma_f64 v[114:115], v[32:33], v[248:249], -v[36:37]
	s_nop 0
	v_addc_co_u32_e32 v35, vcc, 0, v85, vcc
	v_lshl_add_u64 v[32:33], v[84:85], 0, s[22:23]
	global_load_dwordx4 v[152:155], v[34:35], off offset:1376
	global_load_dwordx4 v[160:163], v[32:33], off offset:32
	;; [unrolled: 1-line block ×3, first 2 shown]
	v_fmac_f64_e32 v[108:109], v[42:43], v[252:253]
	v_fmac_f64_e32 v[112:113], v[38:39], v[168:169]
	s_movk_i32 s22, 0x4f
	s_waitcnt lgkmcnt(0)
	s_barrier
	v_cmp_lt_u16_e32 vcc, s22, v98
	s_waitcnt vmcnt(2)
	v_mul_f64 v[32:33], v[30:31], v[154:155]
	v_fma_f64 v[84:85], v[28:29], v[152:153], -v[32:33]
	v_mul_f64 v[118:119], v[28:29], v[154:155]
	s_waitcnt vmcnt(0)
	v_mul_f64 v[28:29], v[26:27], v[158:159]
	v_fma_f64 v[120:121], v[24:25], v[156:157], -v[28:29]
	v_mul_f64 v[122:123], v[24:25], v[158:159]
	v_mul_f64 v[24:25], v[22:23], v[162:163]
	v_mul_f64 v[130:131], v[20:21], v[162:163]
	v_fmac_f64_e32 v[122:123], v[26:27], v[156:157]
	v_fma_f64 v[124:125], v[20:21], v[160:161], -v[24:25]
	v_fmac_f64_e32 v[130:131], v[22:23], v[160:161]
	v_add_f64 v[20:21], v[16:17], -v[78:79]
	v_add_f64 v[22:23], v[18:19], -v[72:73]
	;; [unrolled: 1-line block ×4, first 2 shown]
	v_fmac_f64_e32 v[118:119], v[30:31], v[152:153]
	v_fma_f64 v[16:17], v[16:17], 2.0, -v[20:21]
	v_fma_f64 v[18:19], v[18:19], 2.0, -v[22:23]
	v_fma_f64 v[28:29], v[82:83], 2.0, -v[24:25]
	v_fma_f64 v[30:31], v[76:77], 2.0, -v[26:27]
	v_add_f64 v[64:65], v[16:17], -v[28:29]
	v_add_f64 v[66:67], v[18:19], -v[30:31]
	v_add_f64 v[68:69], v[20:21], -v[26:27]
	v_add_f64 v[70:71], v[22:23], v[24:25]
	v_fma_f64 v[76:77], v[16:17], 2.0, -v[64:65]
	v_fma_f64 v[78:79], v[18:19], 2.0, -v[66:67]
	v_fma_f64 v[72:73], v[20:21], 2.0, -v[68:69]
	v_fma_f64 v[74:75], v[22:23], 2.0, -v[70:71]
	v_add_f64 v[16:17], v[12:13], -v[90:91]
	v_add_f64 v[18:19], v[14:15], -v[60:61]
	v_add_f64 v[20:21], v[86:87], -v[62:63]
	v_add_f64 v[22:23], v[88:89], -v[56:57]
	v_fma_f64 v[12:13], v[12:13], 2.0, -v[16:17]
	v_fma_f64 v[14:15], v[14:15], 2.0, -v[18:19]
	v_fma_f64 v[24:25], v[86:87], 2.0, -v[20:21]
	v_fma_f64 v[26:27], v[88:89], 2.0, -v[22:23]
	v_add_f64 v[52:53], v[12:13], -v[24:25]
	v_add_f64 v[54:55], v[14:15], -v[26:27]
	v_add_f64 v[48:49], v[16:17], -v[22:23]
	v_add_f64 v[50:51], v[18:19], v[20:21]
	v_fma_f64 v[60:61], v[12:13], 2.0, -v[52:53]
	v_fma_f64 v[62:63], v[14:15], 2.0, -v[54:55]
	v_fma_f64 v[56:57], v[16:17], 2.0, -v[48:49]
	v_fma_f64 v[58:59], v[18:19], 2.0, -v[50:51]
	v_add_f64 v[12:13], v[8:9], -v[94:95]
	v_add_f64 v[14:15], v[10:11], -v[96:97]
	v_add_f64 v[16:17], v[80:81], -v[100:101]
	v_add_f64 v[18:19], v[92:93], -v[44:45]
	;; [unrolled: 16-line block ×3, first 2 shown]
	v_fma_f64 v[4:5], v[4:5], 2.0, -v[8:9]
	v_fma_f64 v[6:7], v[6:7], 2.0, -v[10:11]
	;; [unrolled: 1-line block ×4, first 2 shown]
	v_add_f64 v[20:21], v[4:5], -v[16:17]
	v_add_f64 v[22:23], v[6:7], -v[18:19]
	;; [unrolled: 1-line block ×3, first 2 shown]
	v_add_f64 v[18:19], v[10:11], v[12:13]
	v_fma_f64 v[24:25], v[8:9], 2.0, -v[16:17]
	v_fma_f64 v[26:27], v[10:11], 2.0, -v[18:19]
	v_add_f64 v[8:9], v[0:1], -v[120:121]
	v_add_f64 v[10:11], v[2:3], -v[122:123]
	;; [unrolled: 1-line block ×4, first 2 shown]
	v_fma_f64 v[28:29], v[4:5], 2.0, -v[20:21]
	v_fma_f64 v[30:31], v[6:7], 2.0, -v[22:23]
	;; [unrolled: 1-line block ×6, first 2 shown]
	v_add_f64 v[4:5], v[0:1], -v[4:5]
	v_add_f64 v[6:7], v[2:3], -v[6:7]
	ds_write_b128 v172, v[76:79]
	ds_write_b128 v172, v[72:75] offset:6400
	ds_write_b128 v172, v[64:67] offset:12800
	ds_write_b128 v172, v[68:71] offset:19200
	ds_write_b128 v172, v[60:63] offset:2560
	ds_write_b128 v172, v[56:59] offset:8960
	ds_write_b128 v172, v[52:55] offset:15360
	ds_write_b128 v172, v[48:51] offset:21760
	v_mov_b32_e32 v48, 0x640
	v_lshl_add_u64 v[84:85], s[6:7], 0, v[172:173]
	v_fma_f64 v[12:13], v[0:1], 2.0, -v[4:5]
	v_fma_f64 v[14:15], v[2:3], 2.0, -v[6:7]
	v_add_f64 v[0:1], v[8:9], -v[82:83]
	v_add_f64 v[2:3], v[10:11], v[80:81]
	v_cndmask_b32_e32 v48, 0, v48, vcc
	v_add_co_u32_e32 v86, vcc, s27, v84
	v_fma_f64 v[8:9], v[8:9], 2.0, -v[0:1]
	v_fma_f64 v[10:11], v[10:11], 2.0, -v[2:3]
	v_add_lshl_u32 v105, v102, v48, 4
	v_addc_co_u32_e32 v87, vcc, 0, v85, vcc
	ds_write_b128 v105, v[44:47]
	ds_write_b128 v105, v[40:43] offset:6400
	ds_write_b128 v105, v[36:39] offset:12800
	;; [unrolled: 1-line block ×11, first 2 shown]
	s_waitcnt lgkmcnt(0)
	s_barrier
	ds_read_b128 v[36:39], v172
	ds_read_b128 v[80:83], v172 offset:25600
	ds_read_b128 v[32:35], v172 offset:2560
	;; [unrolled: 1-line block ×19, first 2 shown]
	global_load_dwordx4 v[148:151], v[86:87], off offset:864
	global_load_dwordx4 v[144:147], v[86:87], off offset:3424
	s_waitcnt vmcnt(1) lgkmcnt(14)
	v_mul_f64 v[76:77], v[82:83], v[150:151]
	v_fma_f64 v[78:79], v[80:81], v[148:149], -v[76:77]
	v_mul_f64 v[76:77], v[80:81], v[150:151]
	s_waitcnt vmcnt(0)
	v_mul_f64 v[80:81], v[74:75], v[146:147]
	v_fmac_f64_e32 v[76:77], v[82:83], v[148:149]
	v_fma_f64 v[80:81], v[72:73], v[144:145], -v[80:81]
	v_mul_f64 v[82:83], v[72:73], v[146:147]
	v_add_co_u32_e32 v72, vcc, s28, v84
	v_fmac_f64_e32 v[82:83], v[74:75], v[144:145]
	s_nop 0
	v_addc_co_u32_e32 v73, vcc, 0, v85, vcc
	global_load_dwordx4 v[138:141], v[72:73], off offset:1888
	s_waitcnt vmcnt(0)
	v_mul_f64 v[72:73], v[70:71], v[140:141]
	v_fma_f64 v[72:73], v[68:69], v[138:139], -v[72:73]
	v_mul_f64 v[68:69], v[68:69], v[140:141]
	v_fmac_f64_e32 v[68:69], v[70:71], v[138:139]
	v_add_co_u32_e32 v70, vcc, s29, v84
	s_nop 1
	v_addc_co_u32_e32 v71, vcc, 0, v85, vcc
	global_load_dwordx4 v[122:125], v[70:71], off offset:352
	global_load_dwordx4 v[118:121], v[70:71], off offset:2912
	s_waitcnt vmcnt(1) lgkmcnt(12)
	v_mul_f64 v[74:75], v[66:67], v[124:125]
	v_fma_f64 v[74:75], v[64:65], v[122:123], -v[74:75]
	v_mul_f64 v[64:65], v[64:65], v[124:125]
	v_fmac_f64_e32 v[64:65], v[66:67], v[122:123]
	s_waitcnt vmcnt(0) lgkmcnt(10)
	v_mul_f64 v[66:67], v[62:63], v[120:121]
	v_fma_f64 v[66:67], v[60:61], v[118:119], -v[66:67]
	v_mul_f64 v[60:61], v[60:61], v[120:121]
	v_fmac_f64_e32 v[60:61], v[62:63], v[118:119]
	v_add_co_u32_e32 v62, vcc, s34, v84
	s_nop 1
	v_addc_co_u32_e32 v63, vcc, 0, v85, vcc
	global_load_dwordx4 v[114:117], v[62:63], off offset:1376
	global_load_dwordx4 v[110:113], v[62:63], off offset:3936
	s_waitcnt vmcnt(1) lgkmcnt(8)
	v_mul_f64 v[70:71], v[58:59], v[116:117]
	v_fma_f64 v[70:71], v[56:57], v[114:115], -v[70:71]
	v_mul_f64 v[86:87], v[56:57], v[116:117]
	s_waitcnt vmcnt(0) lgkmcnt(6)
	v_mul_f64 v[56:57], v[54:55], v[112:113]
	v_fma_f64 v[88:89], v[52:53], v[110:111], -v[56:57]
	v_mul_f64 v[90:91], v[52:53], v[112:113]
	v_add_co_u32_e32 v52, vcc, s35, v84
	v_fmac_f64_e32 v[86:87], v[58:59], v[114:115]
	s_nop 0
	v_addc_co_u32_e32 v53, vcc, 0, v85, vcc
	global_load_dwordx4 v[106:109], v[52:53], off offset:2400
	v_fmac_f64_e32 v[90:91], v[54:55], v[110:111]
	v_add_f64 v[58:59], v[22:23], -v[60:61]
	v_add_f64 v[60:61], v[16:17], -v[70:71]
	v_add_f64 v[54:55], v[26:27], -v[64:65]
	v_add_f64 v[56:57], v[20:21], -v[66:67]
	v_add_f64 v[62:63], v[18:19], -v[86:87]
	v_add_f64 v[64:65], v[12:13], -v[88:89]
	v_add_f64 v[66:67], v[14:15], -v[90:91]
	v_fma_f64 v[26:27], v[26:27], 2.0, -v[54:55]
	v_fma_f64 v[20:21], v[20:21], 2.0, -v[56:57]
	;; [unrolled: 1-line block ×7, first 2 shown]
	s_waitcnt vmcnt(0) lgkmcnt(4)
	v_mul_f64 v[52:53], v[50:51], v[108:109]
	v_fma_f64 v[96:97], v[48:49], v[106:107], -v[52:53]
	v_mul_f64 v[130:131], v[48:49], v[108:109]
	v_add_co_u32_e32 v48, vcc, s30, v84
	v_fmac_f64_e32 v[130:131], v[50:51], v[106:107]
	s_nop 0
	v_addc_co_u32_e32 v49, vcc, 0, v85, vcc
	global_load_dwordx4 v[100:103], v[48:49], off offset:864
	global_load_dwordx4 v[92:95], v[48:49], off offset:3424
	v_add_f64 v[70:71], v[10:11], -v[130:131]
	v_add_f64 v[48:49], v[28:29], -v[72:73]
	;; [unrolled: 1-line block ×3, first 2 shown]
	v_fma_f64 v[10:11], v[10:11], 2.0, -v[70:71]
	v_fma_f64 v[28:29], v[28:29], 2.0, -v[48:49]
	;; [unrolled: 1-line block ×3, first 2 shown]
	s_waitcnt vmcnt(1) lgkmcnt(2)
	v_mul_f64 v[50:51], v[46:47], v[102:103]
	v_fma_f64 v[84:85], v[44:45], v[100:101], -v[50:51]
	v_mul_f64 v[132:133], v[44:45], v[102:103]
	s_waitcnt vmcnt(0) lgkmcnt(0)
	v_mul_f64 v[44:45], v[42:43], v[94:95]
	v_mul_f64 v[136:137], v[40:41], v[94:95]
	v_fma_f64 v[134:135], v[40:41], v[92:93], -v[44:45]
	v_fmac_f64_e32 v[136:137], v[42:43], v[92:93]
	v_fmac_f64_e32 v[132:133], v[46:47], v[100:101]
	v_add_f64 v[40:41], v[36:37], -v[78:79]
	v_add_f64 v[42:43], v[38:39], -v[76:77]
	v_add_f64 v[50:51], v[30:31], -v[68:69]
	v_add_f64 v[68:69], v[8:9], -v[96:97]
	v_add_f64 v[76:77], v[0:1], -v[134:135]
	v_add_f64 v[78:79], v[2:3], -v[136:137]
	v_fma_f64 v[36:37], v[36:37], 2.0, -v[40:41]
	v_fma_f64 v[38:39], v[38:39], 2.0, -v[42:43]
	v_add_f64 v[44:45], v[32:33], -v[80:81]
	v_add_f64 v[46:47], v[34:35], -v[82:83]
	v_fma_f64 v[8:9], v[8:9], 2.0, -v[68:69]
	v_add_f64 v[72:73], v[4:5], -v[84:85]
	v_add_f64 v[74:75], v[6:7], -v[132:133]
	v_fma_f64 v[0:1], v[0:1], 2.0, -v[76:77]
	v_fma_f64 v[2:3], v[2:3], 2.0, -v[78:79]
	;; [unrolled: 1-line block ×7, first 2 shown]
	ds_write_b128 v172, v[36:39]
	ds_write_b128 v172, v[40:43] offset:25600
	ds_write_b128 v172, v[32:35] offset:2560
	;; [unrolled: 1-line block ×19, first 2 shown]
	s_waitcnt lgkmcnt(0)
	s_barrier
	ds_read_b128 v[0:3], v172
	global_load_dwordx4 v[8:11], v172, s[20:21]
	v_lshl_add_u64 v[6:7], s[20:21], 0, v[172:173]
	s_waitcnt vmcnt(0) lgkmcnt(0)
	v_mul_f64 v[4:5], v[2:3], v[10:11]
	v_mul_f64 v[14:15], v[0:1], v[10:11]
	v_fma_f64 v[12:13], v[0:1], v[8:9], -v[4:5]
	v_fmac_f64_e32 v[14:15], v[2:3], v[8:9]
	v_add_co_u32_e32 v8, vcc, s24, v6
	ds_write_b128 v172, v[12:15]
	s_nop 0
	v_addc_co_u32_e32 v9, vcc, 0, v7, vcc
	global_load_dwordx4 v[10:13], v[8:9], off offset:1024
	ds_read_b128 v[0:3], v172 offset:5120
	s_waitcnt vmcnt(0) lgkmcnt(0)
	v_mul_f64 v[4:5], v[2:3], v[12:13]
	v_fma_f64 v[14:15], v[0:1], v[10:11], -v[4:5]
	v_add_co_u32_e32 v4, vcc, s25, v6
	v_mul_f64 v[16:17], v[0:1], v[12:13]
	s_nop 0
	v_addc_co_u32_e32 v5, vcc, 0, v7, vcc
	v_fmac_f64_e32 v[16:17], v[2:3], v[10:11]
	global_load_dwordx4 v[10:13], v[4:5], off offset:2048
	ds_read_b128 v[0:3], v172 offset:10240
	ds_write_b128 v172, v[14:17] offset:5120
	s_waitcnt vmcnt(0) lgkmcnt(1)
	v_mul_f64 v[4:5], v[2:3], v[12:13]
	v_mul_f64 v[16:17], v[0:1], v[12:13]
	v_add_co_u32_e32 v12, vcc, s26, v6
	v_fma_f64 v[14:15], v[0:1], v[10:11], -v[4:5]
	v_fmac_f64_e32 v[16:17], v[2:3], v[10:11]
	v_addc_co_u32_e32 v13, vcc, 0, v7, vcc
	ds_write_b128 v172, v[14:17] offset:10240
	global_load_dwordx4 v[14:17], v[12:13], off offset:3072
	ds_read_b128 v[0:3], v172 offset:15360
	v_add_co_u32_e32 v10, vcc, s27, v6
	s_waitcnt vmcnt(0) lgkmcnt(0)
	v_mul_f64 v[4:5], v[2:3], v[16:17]
	v_mul_f64 v[20:21], v[0:1], v[16:17]
	v_fma_f64 v[18:19], v[0:1], v[14:15], -v[4:5]
	v_fmac_f64_e32 v[20:21], v[2:3], v[14:15]
	global_load_dwordx4 v[14:17], v128, s[20:21]
	ds_read_b128 v[0:3], v172 offset:20480
	ds_write_b128 v172, v[18:21] offset:15360
	v_addc_co_u32_e32 v11, vcc, 0, v7, vcc
	s_waitcnt vmcnt(0) lgkmcnt(1)
	v_mul_f64 v[4:5], v[2:3], v[16:17]
	v_mul_f64 v[20:21], v[0:1], v[16:17]
	v_fma_f64 v[18:19], v[0:1], v[14:15], -v[4:5]
	v_fmac_f64_e32 v[20:21], v[2:3], v[14:15]
	global_load_dwordx4 v[14:17], v[10:11], off offset:1024
	ds_read_b128 v[0:3], v172 offset:25600
	ds_write_b128 v172, v[18:21] offset:20480
	s_waitcnt vmcnt(0) lgkmcnt(1)
	v_mul_f64 v[4:5], v[2:3], v[16:17]
	v_fma_f64 v[18:19], v[0:1], v[14:15], -v[4:5]
	v_add_co_u32_e32 v4, vcc, s28, v6
	v_mul_f64 v[20:21], v[0:1], v[16:17]
	s_nop 0
	v_addc_co_u32_e32 v5, vcc, 0, v7, vcc
	v_fmac_f64_e32 v[20:21], v[2:3], v[14:15]
	global_load_dwordx4 v[14:17], v[4:5], off offset:2048
	ds_read_b128 v[0:3], v172 offset:30720
	ds_write_b128 v172, v[18:21] offset:25600
	s_waitcnt vmcnt(0) lgkmcnt(1)
	v_mul_f64 v[4:5], v[2:3], v[16:17]
	v_mul_f64 v[20:21], v[0:1], v[16:17]
	v_fma_f64 v[18:19], v[0:1], v[14:15], -v[4:5]
	v_fmac_f64_e32 v[20:21], v[2:3], v[14:15]
	v_add_co_u32_e32 v14, vcc, s29, v6
	ds_write_b128 v172, v[18:21] offset:30720
	s_nop 0
	v_addc_co_u32_e32 v15, vcc, 0, v7, vcc
	global_load_dwordx4 v[16:19], v[14:15], off offset:3072
	ds_read_b128 v[0:3], v172 offset:35840
	s_waitcnt vmcnt(0) lgkmcnt(0)
	v_mul_f64 v[4:5], v[2:3], v[18:19]
	v_mul_f64 v[22:23], v[0:1], v[18:19]
	v_fma_f64 v[20:21], v[0:1], v[16:17], -v[4:5]
	v_fmac_f64_e32 v[22:23], v[2:3], v[16:17]
	global_load_dwordx4 v[16:19], v129, s[20:21]
	ds_read_b128 v[0:3], v172 offset:40960
	ds_write_b128 v172, v[20:23] offset:35840
	s_waitcnt vmcnt(0) lgkmcnt(1)
	v_mul_f64 v[4:5], v[2:3], v[18:19]
	v_fma_f64 v[20:21], v[0:1], v[16:17], -v[4:5]
	v_add_co_u32_e32 v4, vcc, s30, v6
	v_mul_f64 v[22:23], v[0:1], v[18:19]
	s_nop 0
	v_addc_co_u32_e32 v5, vcc, 0, v7, vcc
	v_fmac_f64_e32 v[22:23], v[2:3], v[16:17]
	global_load_dwordx4 v[16:19], v[4:5], off offset:1024
	ds_read_b128 v[0:3], v172 offset:46080
	ds_write_b128 v172, v[20:23] offset:40960
	s_waitcnt vmcnt(0) lgkmcnt(1)
	v_mul_f64 v[20:21], v[2:3], v[18:19]
	v_mul_f64 v[22:23], v[0:1], v[18:19]
	v_fma_f64 v[20:21], v[0:1], v[16:17], -v[20:21]
	v_fmac_f64_e32 v[22:23], v[2:3], v[16:17]
	ds_read_b128 v[0:3], v172 offset:2560
	global_load_dwordx4 v[16:19], v172, s[20:21] offset:2560
	ds_write_b128 v172, v[20:23] offset:46080
	s_waitcnt vmcnt(0) lgkmcnt(1)
	v_mul_f64 v[20:21], v[2:3], v[18:19]
	v_mul_f64 v[22:23], v[0:1], v[18:19]
	v_fma_f64 v[20:21], v[0:1], v[16:17], -v[20:21]
	v_fmac_f64_e32 v[22:23], v[2:3], v[16:17]
	global_load_dwordx4 v[16:19], v[8:9], off offset:3584
	ds_read_b128 v[0:3], v172 offset:7680
	ds_write_b128 v172, v[20:23] offset:2560
	s_waitcnt vmcnt(0) lgkmcnt(1)
	v_mul_f64 v[8:9], v[2:3], v[18:19]
	v_mul_f64 v[22:23], v[0:1], v[18:19]
	v_fma_f64 v[20:21], v[0:1], v[16:17], -v[8:9]
	v_fmac_f64_e32 v[22:23], v[2:3], v[16:17]
	global_load_dwordx4 v[16:19], v[12:13], off offset:512
	ds_read_b128 v[0:3], v172 offset:12800
	ds_write_b128 v172, v[20:23] offset:7680
	s_waitcnt vmcnt(0) lgkmcnt(1)
	v_mul_f64 v[8:9], v[2:3], v[18:19]
	v_fma_f64 v[20:21], v[0:1], v[16:17], -v[8:9]
	v_add_co_u32_e32 v8, vcc, s31, v6
	v_mul_f64 v[22:23], v[0:1], v[18:19]
	s_nop 0
	v_addc_co_u32_e32 v9, vcc, 0, v7, vcc
	v_fmac_f64_e32 v[22:23], v[2:3], v[16:17]
	global_load_dwordx4 v[16:19], v[8:9], off offset:1536
	ds_read_b128 v[0:3], v172 offset:17920
	ds_write_b128 v172, v[20:23] offset:12800
	s_waitcnt vmcnt(0) lgkmcnt(1)
	v_mul_f64 v[8:9], v[2:3], v[18:19]
	v_fma_f64 v[20:21], v[0:1], v[16:17], -v[8:9]
	v_add_co_u32_e32 v8, vcc, s33, v6
	v_mul_f64 v[22:23], v[0:1], v[18:19]
	s_nop 0
	v_addc_co_u32_e32 v9, vcc, 0, v7, vcc
	v_fmac_f64_e32 v[22:23], v[2:3], v[16:17]
	global_load_dwordx4 v[16:19], v[8:9], off offset:2560
	ds_read_b128 v[0:3], v172 offset:23040
	ds_write_b128 v172, v[20:23] offset:17920
	s_waitcnt vmcnt(0) lgkmcnt(1)
	v_mul_f64 v[8:9], v[2:3], v[18:19]
	v_fma_f64 v[20:21], v[0:1], v[16:17], -v[8:9]
	global_load_dwordx4 v[8:11], v[10:11], off offset:3584
	v_mul_f64 v[22:23], v[0:1], v[18:19]
	v_fmac_f64_e32 v[22:23], v[2:3], v[16:17]
	ds_read_b128 v[0:3], v172 offset:28160
	ds_write_b128 v172, v[20:23] offset:23040
	s_waitcnt vmcnt(0) lgkmcnt(1)
	v_mul_f64 v[12:13], v[2:3], v[10:11]
	v_mul_f64 v[18:19], v[0:1], v[10:11]
	v_fma_f64 v[16:17], v[0:1], v[8:9], -v[12:13]
	v_fmac_f64_e32 v[18:19], v[2:3], v[8:9]
	global_load_dwordx4 v[8:11], v[14:15], off offset:512
	ds_read_b128 v[0:3], v172 offset:33280
	ds_write_b128 v172, v[16:19] offset:28160
	s_waitcnt vmcnt(0) lgkmcnt(1)
	v_mul_f64 v[12:13], v[2:3], v[10:11]
	v_mul_f64 v[14:15], v[0:1], v[10:11]
	v_fma_f64 v[12:13], v[0:1], v[8:9], -v[12:13]
	v_fmac_f64_e32 v[14:15], v[2:3], v[8:9]
	v_add_co_u32_e32 v8, vcc, s34, v6
	ds_read_b128 v[0:3], v172 offset:38400
	s_nop 0
	v_addc_co_u32_e32 v9, vcc, 0, v7, vcc
	global_load_dwordx4 v[8:11], v[8:9], off offset:1536
	v_add_co_u32_e32 v6, vcc, s35, v6
	ds_write_b128 v172, v[12:15] offset:33280
	s_nop 0
	v_addc_co_u32_e32 v7, vcc, 0, v7, vcc
	s_waitcnt vmcnt(0) lgkmcnt(1)
	v_mul_f64 v[12:13], v[2:3], v[10:11]
	v_mul_f64 v[14:15], v[0:1], v[10:11]
	v_fma_f64 v[12:13], v[0:1], v[8:9], -v[12:13]
	v_fmac_f64_e32 v[14:15], v[2:3], v[8:9]
	global_load_dwordx4 v[6:9], v[6:7], off offset:2560
	ds_read_b128 v[0:3], v172 offset:43520
	ds_write_b128 v172, v[12:15] offset:38400
	s_waitcnt vmcnt(0) lgkmcnt(1)
	v_mul_f64 v[10:11], v[2:3], v[8:9]
	v_mul_f64 v[12:13], v[0:1], v[8:9]
	v_fma_f64 v[10:11], v[0:1], v[6:7], -v[10:11]
	v_fmac_f64_e32 v[12:13], v[2:3], v[6:7]
	global_load_dwordx4 v[4:7], v[4:5], off offset:3584
	ds_read_b128 v[0:3], v172 offset:48640
	ds_write_b128 v172, v[10:13] offset:43520
	s_waitcnt vmcnt(0) lgkmcnt(1)
	v_mul_f64 v[8:9], v[2:3], v[6:7]
	v_mul_f64 v[10:11], v[0:1], v[6:7]
	v_fma_f64 v[8:9], v[0:1], v[4:5], -v[8:9]
	v_fmac_f64_e32 v[10:11], v[2:3], v[4:5]
	ds_write_b128 v172, v[8:11] offset:48640
	s_waitcnt lgkmcnt(0)
	s_barrier
	ds_read_b128 v[24:27], v172
	ds_read_b128 v[44:47], v172 offset:5120
	ds_read_b128 v[28:31], v172 offset:10240
	;; [unrolled: 1-line block ×19, first 2 shown]
	s_waitcnt lgkmcnt(13)
	v_add_f64 v[70:71], v[72:73], v[76:77]
	v_fma_f64 v[136:137], -0.5, v[70:71], v[24:25]
	s_waitcnt lgkmcnt(11)
	v_add_f64 v[70:71], v[30:31], -v[82:83]
	v_fma_f64 v[130:131], s[10:11], v[70:71], v[136:137]
	v_add_f64 v[84:85], v[74:75], -v[78:79]
	v_add_f64 v[86:87], v[28:29], -v[72:73]
	;; [unrolled: 1-line block ×3, first 2 shown]
	v_fmac_f64_e32 v[136:137], s[4:5], v[70:71]
	v_fmac_f64_e32 v[130:131], s[12:13], v[84:85]
	v_add_f64 v[86:87], v[86:87], v[88:89]
	v_fmac_f64_e32 v[136:137], s[2:3], v[84:85]
	v_add_f64 v[68:69], v[24:25], v[28:29]
	v_fmac_f64_e32 v[130:131], s[8:9], v[86:87]
	v_fmac_f64_e32 v[136:137], s[8:9], v[86:87]
	v_add_f64 v[86:87], v[28:29], v[80:81]
	v_add_f64 v[68:69], v[68:69], v[72:73]
	v_fmac_f64_e32 v[24:25], -0.5, v[86:87]
	v_add_f64 v[68:69], v[68:69], v[76:77]
	v_fma_f64 v[128:129], s[4:5], v[84:85], v[24:25]
	v_fmac_f64_e32 v[24:25], s[10:11], v[84:85]
	v_add_f64 v[84:85], v[74:75], v[78:79]
	v_add_f64 v[68:69], v[68:69], v[80:81]
	v_add_f64 v[88:89], v[76:77], -v[80:81]
	v_fma_f64 v[134:135], -0.5, v[84:85], v[26:27]
	v_add_f64 v[80:81], v[28:29], -v[80:81]
	v_add_f64 v[86:87], v[72:73], -v[28:29]
	v_fma_f64 v[132:133], s[4:5], v[80:81], v[134:135]
	v_add_f64 v[72:73], v[72:73], -v[76:77]
	v_add_f64 v[28:29], v[30:31], -v[74:75]
	;; [unrolled: 1-line block ×3, first 2 shown]
	v_fmac_f64_e32 v[134:135], s[10:11], v[80:81]
	v_fmac_f64_e32 v[132:133], s[2:3], v[72:73]
	v_add_f64 v[28:29], v[28:29], v[76:77]
	v_fmac_f64_e32 v[134:135], s[12:13], v[72:73]
	v_fmac_f64_e32 v[132:133], s[8:9], v[28:29]
	;; [unrolled: 1-line block ×3, first 2 shown]
	v_add_f64 v[28:29], v[30:31], v[82:83]
	v_fmac_f64_e32 v[128:129], s[12:13], v[70:71]
	v_fmac_f64_e32 v[24:25], s[2:3], v[70:71]
	v_add_f64 v[70:71], v[26:27], v[30:31]
	v_fmac_f64_e32 v[26:27], -0.5, v[28:29]
	v_add_f64 v[70:71], v[70:71], v[74:75]
	v_fma_f64 v[28:29], s[10:11], v[72:73], v[26:27]
	v_fmac_f64_e32 v[26:27], s[4:5], v[72:73]
	v_add_f64 v[72:73], v[52:53], v[56:57]
	v_add_f64 v[70:71], v[70:71], v[78:79]
	v_add_f64 v[30:31], v[74:75], -v[30:31]
	v_add_f64 v[74:75], v[78:79], -v[82:83]
	v_fma_f64 v[78:79], -0.5, v[72:73], v[44:45]
	s_waitcnt lgkmcnt(10)
	v_add_f64 v[72:73], v[50:51], -v[62:63]
	v_add_f64 v[70:71], v[70:71], v[82:83]
	v_fmac_f64_e32 v[28:29], s[2:3], v[80:81]
	v_add_f64 v[30:31], v[30:31], v[74:75]
	v_fmac_f64_e32 v[26:27], s[12:13], v[80:81]
	v_fma_f64 v[74:75], s[10:11], v[72:73], v[78:79]
	v_add_f64 v[76:77], v[54:55], -v[58:59]
	v_add_f64 v[80:81], v[48:49], -v[52:53]
	;; [unrolled: 1-line block ×3, first 2 shown]
	v_fmac_f64_e32 v[78:79], s[4:5], v[72:73]
	v_fmac_f64_e32 v[74:75], s[12:13], v[76:77]
	v_add_f64 v[80:81], v[80:81], v[82:83]
	v_fmac_f64_e32 v[78:79], s[2:3], v[76:77]
	v_fmac_f64_e32 v[74:75], s[8:9], v[80:81]
	;; [unrolled: 1-line block ×3, first 2 shown]
	v_add_f64 v[80:81], v[48:49], v[60:61]
	v_fmac_f64_e32 v[28:29], s[8:9], v[30:31]
	v_fmac_f64_e32 v[26:27], s[8:9], v[30:31]
	v_add_f64 v[30:31], v[44:45], v[48:49]
	v_fmac_f64_e32 v[44:45], -0.5, v[80:81]
	v_fma_f64 v[90:91], s[4:5], v[76:77], v[44:45]
	v_fmac_f64_e32 v[44:45], s[10:11], v[76:77]
	v_fmac_f64_e32 v[90:91], s[12:13], v[72:73]
	;; [unrolled: 1-line block ×3, first 2 shown]
	v_add_f64 v[72:73], v[46:47], v[50:51]
	v_add_f64 v[72:73], v[72:73], v[54:55]
	v_add_f64 v[72:73], v[72:73], v[58:59]
	v_add_f64 v[30:31], v[30:31], v[52:53]
	v_add_f64 v[96:97], v[72:73], v[62:63]
	v_add_f64 v[72:73], v[54:55], v[58:59]
	v_add_f64 v[30:31], v[30:31], v[56:57]
	v_add_f64 v[80:81], v[52:53], -v[48:49]
	v_fma_f64 v[142:143], -0.5, v[72:73], v[46:47]
	v_add_f64 v[48:49], v[48:49], -v[60:61]
	v_add_f64 v[30:31], v[30:31], v[60:61]
	v_add_f64 v[82:83], v[56:57], -v[60:61]
	v_fma_f64 v[60:61], s[4:5], v[48:49], v[142:143]
	v_add_f64 v[52:53], v[52:53], -v[56:57]
	v_add_f64 v[56:57], v[50:51], -v[54:55]
	;; [unrolled: 1-line block ×3, first 2 shown]
	v_fmac_f64_e32 v[142:143], s[10:11], v[48:49]
	v_fmac_f64_e32 v[60:61], s[2:3], v[52:53]
	v_add_f64 v[56:57], v[56:57], v[72:73]
	v_fmac_f64_e32 v[142:143], s[12:13], v[52:53]
	v_fmac_f64_e32 v[60:61], s[8:9], v[56:57]
	;; [unrolled: 1-line block ×3, first 2 shown]
	v_add_f64 v[56:57], v[50:51], v[62:63]
	v_fmac_f64_e32 v[46:47], -0.5, v[56:57]
	v_fma_f64 v[56:57], s[10:11], v[52:53], v[46:47]
	v_add_f64 v[50:51], v[54:55], -v[50:51]
	v_add_f64 v[54:55], v[58:59], -v[62:63]
	v_fmac_f64_e32 v[46:47], s[4:5], v[52:53]
	v_add_f64 v[50:51], v[50:51], v[54:55]
	v_fmac_f64_e32 v[46:47], s[12:13], v[48:49]
	v_add_f64 v[80:81], v[80:81], v[82:83]
	;; [unrolled: 2-line block ×3, first 2 shown]
	v_fmac_f64_e32 v[44:45], s[8:9], v[80:81]
	v_mul_f64 v[54:55], v[46:47], s[10:11]
	v_fmac_f64_e32 v[24:25], s[8:9], v[86:87]
	v_fmac_f64_e32 v[54:55], s[16:17], v[44:45]
	v_mul_f64 v[46:47], v[46:47], s[16:17]
	v_add_f64 v[72:73], v[24:25], v[54:55]
	v_fmac_f64_e32 v[46:47], s[4:5], v[44:45]
	v_add_f64 v[44:45], v[24:25], -v[54:55]
	s_waitcnt lgkmcnt(7)
	v_add_f64 v[24:25], v[4:5], v[20:21]
	v_fmac_f64_e32 v[56:57], s[2:3], v[48:49]
	v_mul_f64 v[48:49], v[60:61], s[12:13]
	s_waitcnt lgkmcnt(5)
	v_add_f64 v[24:25], v[24:25], v[16:17]
	v_fmac_f64_e32 v[56:57], s[8:9], v[50:51]
	v_fmac_f64_e32 v[48:49], s[18:19], v[74:75]
	s_waitcnt lgkmcnt(3)
	v_add_f64 v[24:25], v[24:25], v[12:13]
	v_fmac_f64_e32 v[90:91], s[8:9], v[80:81]
	v_add_f64 v[84:85], v[130:131], v[48:49]
	v_mul_f64 v[50:51], v[56:57], s[10:11]
	v_mul_f64 v[58:59], v[142:143], s[12:13]
	;; [unrolled: 1-line block ×4, first 2 shown]
	v_add_f64 v[56:57], v[130:131], -v[48:49]
	s_waitcnt lgkmcnt(1)
	v_add_f64 v[130:131], v[24:25], v[8:9]
	v_add_f64 v[24:25], v[16:17], v[12:13]
	;; [unrolled: 1-line block ×3, first 2 shown]
	v_fmac_f64_e32 v[58:59], s[14:15], v[78:79]
	v_fmac_f64_e32 v[62:63], s[18:19], v[60:61]
	v_fmac_f64_e32 v[164:165], s[4:5], v[90:91]
	v_add_f64 v[52:53], v[68:69], -v[30:31]
	v_fma_f64 v[68:69], -0.5, v[24:25], v[4:5]
	v_add_f64 v[24:25], v[22:23], -v[10:11]
	v_fmac_f64_e32 v[128:129], s[8:9], v[86:87]
	v_fmac_f64_e32 v[50:51], s[8:9], v[90:91]
	v_add_f64 v[76:77], v[136:137], v[58:59]
	v_add_f64 v[86:87], v[132:133], v[62:63]
	v_add_f64 v[90:91], v[28:29], v[164:165]
	v_add_f64 v[74:75], v[26:27], v[46:47]
	v_add_f64 v[48:49], v[136:137], -v[58:59]
	v_add_f64 v[58:59], v[132:133], -v[62:63]
	;; [unrolled: 1-line block ×4, first 2 shown]
	v_fma_f64 v[132:133], s[10:11], v[24:25], v[68:69]
	v_add_f64 v[26:27], v[18:19], -v[14:15]
	v_add_f64 v[28:29], v[20:21], -v[16:17]
	;; [unrolled: 1-line block ×3, first 2 shown]
	v_fmac_f64_e32 v[68:69], s[4:5], v[24:25]
	v_fmac_f64_e32 v[132:133], s[12:13], v[26:27]
	v_add_f64 v[28:29], v[28:29], v[30:31]
	v_fmac_f64_e32 v[68:69], s[2:3], v[26:27]
	v_fmac_f64_e32 v[132:133], s[8:9], v[28:29]
	;; [unrolled: 1-line block ×3, first 2 shown]
	v_add_f64 v[28:29], v[20:21], v[8:9]
	v_fmac_f64_e32 v[4:5], -0.5, v[28:29]
	v_fma_f64 v[136:137], s[4:5], v[26:27], v[4:5]
	v_fmac_f64_e32 v[4:5], s[10:11], v[26:27]
	v_fmac_f64_e32 v[136:137], s[12:13], v[24:25]
	;; [unrolled: 1-line block ×3, first 2 shown]
	v_add_f64 v[24:25], v[6:7], v[22:23]
	v_add_f64 v[24:25], v[24:25], v[18:19]
	v_add_f64 v[24:25], v[24:25], v[14:15]
	v_add_f64 v[82:83], v[70:71], v[96:97]
	v_add_f64 v[54:55], v[70:71], -v[96:97]
	v_add_f64 v[96:97], v[24:25], v[10:11]
	v_add_f64 v[24:25], v[18:19], v[14:15]
	v_add_f64 v[30:31], v[12:13], -v[8:9]
	v_fma_f64 v[70:71], -0.5, v[24:25], v[6:7]
	v_add_f64 v[8:9], v[20:21], -v[8:9]
	v_add_f64 v[88:89], v[128:129], v[50:51]
	v_add_f64 v[60:61], v[128:129], -v[50:51]
	v_add_f64 v[28:29], v[16:17], -v[20:21]
	v_fma_f64 v[128:129], s[4:5], v[8:9], v[70:71]
	v_add_f64 v[12:13], v[16:17], -v[12:13]
	v_add_f64 v[16:17], v[22:23], -v[18:19]
	;; [unrolled: 1-line block ×3, first 2 shown]
	v_fmac_f64_e32 v[70:71], s[10:11], v[8:9]
	v_fmac_f64_e32 v[128:129], s[2:3], v[12:13]
	v_add_f64 v[16:17], v[16:17], v[20:21]
	v_fmac_f64_e32 v[70:71], s[12:13], v[12:13]
	v_mul_f64 v[142:143], v[142:143], s[14:15]
	v_fmac_f64_e32 v[128:129], s[8:9], v[16:17]
	v_fmac_f64_e32 v[70:71], s[8:9], v[16:17]
	v_add_f64 v[16:17], v[22:23], v[10:11]
	v_fmac_f64_e32 v[142:143], s[2:3], v[78:79]
	v_fmac_f64_e32 v[6:7], -0.5, v[16:17]
	v_add_f64 v[78:79], v[134:135], v[142:143]
	v_add_f64 v[50:51], v[134:135], -v[142:143]
	v_fma_f64 v[134:135], s[10:11], v[12:13], v[6:7]
	v_fmac_f64_e32 v[6:7], s[4:5], v[12:13]
	v_fmac_f64_e32 v[134:135], s[2:3], v[8:9]
	;; [unrolled: 1-line block ×3, first 2 shown]
	v_add_f64 v[8:9], v[0:1], v[40:41]
	v_add_f64 v[8:9], v[8:9], v[36:37]
	;; [unrolled: 1-line block ×3, first 2 shown]
	v_add_f64 v[16:17], v[18:19], -v[22:23]
	v_add_f64 v[10:11], v[14:15], -v[10:11]
	s_waitcnt lgkmcnt(0)
	v_add_f64 v[24:25], v[8:9], v[64:65]
	v_add_f64 v[8:9], v[36:37], v[32:33]
	v_add_f64 v[10:11], v[16:17], v[10:11]
	v_fma_f64 v[22:23], -0.5, v[8:9], v[0:1]
	v_add_f64 v[8:9], v[42:43], -v[66:67]
	v_fmac_f64_e32 v[134:135], s[8:9], v[10:11]
	v_fmac_f64_e32 v[6:7], s[8:9], v[10:11]
	v_fma_f64 v[10:11], s[10:11], v[8:9], v[22:23]
	v_add_f64 v[12:13], v[38:39], -v[34:35]
	v_add_f64 v[14:15], v[40:41], -v[36:37]
	;; [unrolled: 1-line block ×3, first 2 shown]
	v_fmac_f64_e32 v[22:23], s[4:5], v[8:9]
	v_fmac_f64_e32 v[10:11], s[12:13], v[12:13]
	v_add_f64 v[14:15], v[14:15], v[16:17]
	v_fmac_f64_e32 v[22:23], s[2:3], v[12:13]
	v_fmac_f64_e32 v[10:11], s[8:9], v[14:15]
	v_fmac_f64_e32 v[22:23], s[8:9], v[14:15]
	v_add_f64 v[14:15], v[40:41], v[64:65]
	v_fmac_f64_e32 v[0:1], -0.5, v[14:15]
	v_add_f64 v[28:29], v[28:29], v[30:31]
	v_fma_f64 v[30:31], s[4:5], v[12:13], v[0:1]
	v_fmac_f64_e32 v[0:1], s[10:11], v[12:13]
	v_fmac_f64_e32 v[30:31], s[12:13], v[8:9]
	;; [unrolled: 1-line block ×3, first 2 shown]
	v_add_f64 v[8:9], v[2:3], v[42:43]
	v_add_f64 v[8:9], v[8:9], v[38:39]
	;; [unrolled: 1-line block ×3, first 2 shown]
	v_add_f64 v[14:15], v[36:37], -v[40:41]
	v_add_f64 v[16:17], v[32:33], -v[64:65]
	v_add_f64 v[26:27], v[8:9], v[66:67]
	v_add_f64 v[8:9], v[38:39], v[34:35]
	;; [unrolled: 1-line block ×3, first 2 shown]
	v_fma_f64 v[142:143], -0.5, v[8:9], v[2:3]
	v_add_f64 v[8:9], v[40:41], -v[64:65]
	v_fmac_f64_e32 v[30:31], s[8:9], v[14:15]
	v_fmac_f64_e32 v[0:1], s[8:9], v[14:15]
	v_fma_f64 v[14:15], s[4:5], v[8:9], v[142:143]
	v_add_f64 v[12:13], v[36:37], -v[32:33]
	v_add_f64 v[16:17], v[42:43], -v[38:39]
	;; [unrolled: 1-line block ×3, first 2 shown]
	v_fmac_f64_e32 v[142:143], s[10:11], v[8:9]
	v_fmac_f64_e32 v[14:15], s[2:3], v[12:13]
	v_add_f64 v[16:17], v[16:17], v[18:19]
	v_fmac_f64_e32 v[142:143], s[12:13], v[12:13]
	v_fmac_f64_e32 v[14:15], s[8:9], v[16:17]
	v_fmac_f64_e32 v[142:143], s[8:9], v[16:17]
	v_add_f64 v[16:17], v[42:43], v[66:67]
	v_fmac_f64_e32 v[2:3], -0.5, v[16:17]
	v_fma_f64 v[32:33], s[10:11], v[12:13], v[2:3]
	v_add_f64 v[16:17], v[38:39], -v[42:43]
	v_add_f64 v[18:19], v[34:35], -v[66:67]
	v_fmac_f64_e32 v[2:3], s[4:5], v[12:13]
	v_fmac_f64_e32 v[32:33], s[2:3], v[8:9]
	v_add_f64 v[16:17], v[16:17], v[18:19]
	v_fmac_f64_e32 v[2:3], s[12:13], v[8:9]
	v_fmac_f64_e32 v[32:33], s[8:9], v[16:17]
	;; [unrolled: 1-line block ×3, first 2 shown]
	v_mul_f64 v[34:35], v[14:15], s[12:13]
	v_mul_f64 v[38:39], v[32:33], s[10:11]
	;; [unrolled: 1-line block ×8, first 2 shown]
	v_fmac_f64_e32 v[136:137], s[8:9], v[28:29]
	v_fmac_f64_e32 v[4:5], s[8:9], v[28:29]
	;; [unrolled: 1-line block ×10, first 2 shown]
	v_add_f64 v[16:17], v[130:131], v[24:25]
	v_add_f64 v[12:13], v[132:133], v[34:35]
	;; [unrolled: 1-line block ×10, first 2 shown]
	v_add_f64 v[36:37], v[130:131], -v[24:25]
	v_add_f64 v[32:33], v[132:133], -v[34:35]
	;; [unrolled: 1-line block ×10, first 2 shown]
	s_barrier
	ds_write_b128 v167, v[80:83]
	ds_write_b128 v167, v[84:87] offset:16
	ds_write_b128 v167, v[88:91] offset:32
	;; [unrolled: 1-line block ×9, first 2 shown]
	ds_write_b128 v166, v[16:19]
	ds_write_b128 v166, v[12:15] offset:16
	ds_write_b128 v166, v[8:11] offset:32
	ds_write_b128 v166, v[28:31] offset:48
	ds_write_b128 v166, v[20:23] offset:64
	ds_write_b128 v166, v[36:39] offset:80
	ds_write_b128 v166, v[32:35] offset:96
	ds_write_b128 v166, v[0:3] offset:112
	ds_write_b128 v166, v[40:43] offset:128
	ds_write_b128 v166, v[4:7] offset:144
	v_accvgpr_read_b32 v82, a98
	v_accvgpr_read_b32 v84, a100
	;; [unrolled: 1-line block ×3, first 2 shown]
	s_waitcnt lgkmcnt(0)
	s_barrier
	ds_read_b128 v[24:27], v172
	ds_read_b128 v[64:67], v172 offset:5120
	ds_read_b128 v[68:71], v172 offset:10240
	;; [unrolled: 1-line block ×19, first 2 shown]
	v_accvgpr_read_b32 v83, a99
	s_waitcnt lgkmcnt(14)
	v_mul_f64 v[80:81], v[84:85], v[66:67]
	v_fmac_f64_e32 v[80:81], v[82:83], v[64:65]
	v_mul_f64 v[64:65], v[84:85], v[64:65]
	v_accvgpr_read_b32 v84, a94
	v_accvgpr_read_b32 v86, a96
	;; [unrolled: 1-line block ×4, first 2 shown]
	v_mul_f64 v[130:131], v[86:87], v[70:71]
	v_fma_f64 v[82:83], v[82:83], v[66:67], -v[64:65]
	v_fmac_f64_e32 v[130:131], v[84:85], v[68:69]
	v_mul_f64 v[64:65], v[86:87], v[68:69]
	v_accvgpr_read_b32 v66, a90
	v_accvgpr_read_b32 v68, a92
	;; [unrolled: 1-line block ×3, first 2 shown]
	v_fma_f64 v[136:137], v[84:85], v[70:71], -v[64:65]
	v_accvgpr_read_b32 v67, a91
	v_mul_f64 v[96:97], v[68:69], v[74:75]
	v_mul_f64 v[64:65], v[68:69], v[72:73]
	v_fmac_f64_e32 v[96:97], v[66:67], v[72:73]
	v_fma_f64 v[86:87], v[66:67], v[74:75], -v[64:65]
	v_accvgpr_read_b32 v66, a86
	v_accvgpr_read_b32 v68, a88
	;; [unrolled: 1-line block ×4, first 2 shown]
	v_mul_f64 v[164:165], v[68:69], v[78:79]
	v_mul_f64 v[64:65], v[68:69], v[76:77]
	v_fmac_f64_e32 v[164:165], v[66:67], v[76:77]
	v_fma_f64 v[142:143], v[66:67], v[78:79], -v[64:65]
	v_accvgpr_read_b32 v64, a114
	v_accvgpr_read_b32 v66, a116
	;; [unrolled: 1-line block ×4, first 2 shown]
	v_mul_f64 v[128:129], v[66:67], v[62:63]
	v_fmac_f64_e32 v[128:129], v[64:65], v[60:61]
	v_mul_f64 v[60:61], v[66:67], v[60:61]
	v_fma_f64 v[88:89], v[64:65], v[62:63], -v[60:61]
	v_accvgpr_read_b32 v60, a110
	v_accvgpr_read_b32 v62, a112
	v_accvgpr_read_b32 v63, a113
	v_accvgpr_read_b32 v61, a111
	s_waitcnt lgkmcnt(13)
	v_mul_f64 v[174:175], v[62:63], v[58:59]
	v_fmac_f64_e32 v[174:175], v[60:61], v[56:57]
	v_mul_f64 v[56:57], v[62:63], v[56:57]
	v_fma_f64 v[166:167], v[60:61], v[58:59], -v[56:57]
	v_accvgpr_read_b32 v56, a106
	v_accvgpr_read_b32 v58, a108
	v_accvgpr_read_b32 v59, a109
	v_accvgpr_read_b32 v57, a107
	s_waitcnt lgkmcnt(12)
	;; [unrolled: 9-line block ×5, first 2 shown]
	v_mul_f64 v[58:59], v[52:53], v[46:47]
	v_mul_f64 v[42:43], v[52:53], v[44:45]
	v_fmac_f64_e32 v[58:59], v[50:51], v[44:45]
	v_fma_f64 v[62:63], v[50:51], v[46:47], -v[42:43]
	v_accvgpr_read_b32 v42, a150
	v_accvgpr_read_b32 v44, a152
	v_accvgpr_read_b32 v45, a153
	v_accvgpr_read_b32 v43, a151
	s_waitcnt lgkmcnt(7)
	v_mul_f64 v[72:73], v[44:45], v[38:39]
	v_fmac_f64_e32 v[72:73], v[42:43], v[36:37]
	v_mul_f64 v[36:37], v[44:45], v[36:37]
	v_fma_f64 v[64:65], v[42:43], v[38:39], -v[36:37]
	v_accvgpr_read_b32 v36, a142
	v_accvgpr_read_b32 v38, a144
	v_accvgpr_read_b32 v39, a145
	v_accvgpr_read_b32 v37, a143
	s_waitcnt lgkmcnt(6)
	v_mul_f64 v[52:53], v[38:39], v[34:35]
	v_fmac_f64_e32 v[52:53], v[36:37], v[32:33]
	v_mul_f64 v[32:33], v[38:39], v[32:33]
	;; [unrolled: 9-line block ×8, first 2 shown]
	v_fma_f64 v[50:51], v[8:9], v[6:7], -v[4:5]
	v_add_f64 v[4:5], v[24:25], v[130:131]
	v_add_f64 v[4:5], v[4:5], v[164:165]
	;; [unrolled: 1-line block ×5, first 2 shown]
	v_fma_f64 v[30:31], -0.5, v[4:5], v[24:25]
	v_add_f64 v[4:5], v[136:137], -v[48:49]
	v_fma_f64 v[32:33], s[10:11], v[4:5], v[30:31]
	v_add_f64 v[6:7], v[142:143], -v[166:167]
	v_add_f64 v[8:9], v[130:131], -v[164:165]
	v_add_f64 v[10:11], v[70:71], -v[174:175]
	v_fmac_f64_e32 v[30:31], s[4:5], v[4:5]
	v_fmac_f64_e32 v[32:33], s[12:13], v[6:7]
	v_add_f64 v[8:9], v[8:9], v[10:11]
	v_fmac_f64_e32 v[30:31], s[2:3], v[6:7]
	v_fmac_f64_e32 v[32:33], s[8:9], v[8:9]
	v_fmac_f64_e32 v[30:31], s[8:9], v[8:9]
	v_add_f64 v[8:9], v[130:131], v[70:71]
	v_fmac_f64_e32 v[24:25], -0.5, v[8:9]
	v_fma_f64 v[38:39], s[4:5], v[6:7], v[24:25]
	v_fmac_f64_e32 v[24:25], s[10:11], v[6:7]
	v_fmac_f64_e32 v[38:39], s[12:13], v[4:5]
	v_fmac_f64_e32 v[24:25], s[2:3], v[4:5]
	v_add_f64 v[4:5], v[26:27], v[136:137]
	v_add_f64 v[4:5], v[4:5], v[142:143]
	v_add_f64 v[4:5], v[4:5], v[166:167]
	v_add_f64 v[8:9], v[164:165], -v[130:131]
	v_add_f64 v[10:11], v[174:175], -v[70:71]
	v_add_f64 v[34:35], v[4:5], v[48:49]
	v_add_f64 v[4:5], v[142:143], v[166:167]
	v_add_f64 v[8:9], v[8:9], v[10:11]
	v_fma_f64 v[84:85], -0.5, v[4:5], v[26:27]
	v_add_f64 v[4:5], v[130:131], -v[70:71]
	v_fmac_f64_e32 v[38:39], s[8:9], v[8:9]
	v_fmac_f64_e32 v[24:25], s[8:9], v[8:9]
	v_fma_f64 v[42:43], s[4:5], v[4:5], v[84:85]
	v_add_f64 v[6:7], v[164:165], -v[174:175]
	v_add_f64 v[8:9], v[136:137], -v[142:143]
	v_add_f64 v[10:11], v[48:49], -v[166:167]
	v_fmac_f64_e32 v[84:85], s[10:11], v[4:5]
	v_fmac_f64_e32 v[42:43], s[2:3], v[6:7]
	v_add_f64 v[8:9], v[8:9], v[10:11]
	v_fmac_f64_e32 v[84:85], s[12:13], v[6:7]
	v_fmac_f64_e32 v[42:43], s[8:9], v[8:9]
	v_fmac_f64_e32 v[84:85], s[8:9], v[8:9]
	v_add_f64 v[8:9], v[136:137], v[48:49]
	v_fmac_f64_e32 v[26:27], -0.5, v[8:9]
	v_fma_f64 v[130:131], s[10:11], v[6:7], v[26:27]
	v_fmac_f64_e32 v[26:27], s[4:5], v[6:7]
	v_fmac_f64_e32 v[130:131], s[2:3], v[4:5]
	v_fmac_f64_e32 v[26:27], s[12:13], v[4:5]
	v_add_f64 v[4:5], v[80:81], v[96:97]
	v_add_f64 v[4:5], v[4:5], v[128:129]
	v_add_f64 v[4:5], v[4:5], v[132:133]
	v_add_f64 v[8:9], v[142:143], -v[136:137]
	v_add_f64 v[10:11], v[166:167], -v[48:49]
	v_add_f64 v[36:37], v[4:5], v[134:135]
	v_add_f64 v[4:5], v[128:129], v[132:133]
	v_add_f64 v[8:9], v[8:9], v[10:11]
	v_fma_f64 v[18:19], -0.5, v[4:5], v[80:81]
	v_add_f64 v[4:5], v[86:87], -v[40:41]
	v_fmac_f64_e32 v[130:131], s[8:9], v[8:9]
	v_fmac_f64_e32 v[26:27], s[8:9], v[8:9]
	;; [unrolled: 28-line block ×3, first 2 shown]
	v_fma_f64 v[10:11], s[4:5], v[4:5], v[48:49]
	v_add_f64 v[8:9], v[128:129], -v[132:133]
	v_add_f64 v[16:17], v[86:87], -v[88:89]
	;; [unrolled: 1-line block ×3, first 2 shown]
	v_fmac_f64_e32 v[48:49], s[10:11], v[4:5]
	v_fmac_f64_e32 v[10:11], s[2:3], v[8:9]
	v_add_f64 v[16:17], v[16:17], v[20:21]
	v_fmac_f64_e32 v[48:49], s[12:13], v[8:9]
	v_fmac_f64_e32 v[10:11], s[8:9], v[16:17]
	;; [unrolled: 1-line block ×3, first 2 shown]
	v_add_f64 v[16:17], v[86:87], v[40:41]
	v_fmac_f64_e32 v[82:83], -0.5, v[16:17]
	v_fma_f64 v[70:71], s[10:11], v[8:9], v[82:83]
	v_add_f64 v[16:17], v[88:89], -v[86:87]
	v_add_f64 v[20:21], v[90:91], -v[40:41]
	v_fmac_f64_e32 v[82:83], s[4:5], v[8:9]
	v_fmac_f64_e32 v[70:71], s[2:3], v[4:5]
	v_add_f64 v[16:17], v[16:17], v[20:21]
	v_fmac_f64_e32 v[82:83], s[12:13], v[4:5]
	v_fmac_f64_e32 v[70:71], s[8:9], v[16:17]
	;; [unrolled: 1-line block ×3, first 2 shown]
	v_mul_f64 v[86:87], v[70:71], s[10:11]
	v_mul_f64 v[88:89], v[82:83], s[10:11]
	;; [unrolled: 1-line block ×6, first 2 shown]
	v_fmac_f64_e32 v[86:87], s[8:9], v[22:23]
	v_fmac_f64_e32 v[96:97], s[2:3], v[6:7]
	v_mul_f64 v[70:71], v[70:71], s[8:9]
	v_fmac_f64_e32 v[82:83], s[4:5], v[80:81]
	v_fmac_f64_e32 v[48:49], s[2:3], v[18:19]
	v_add_f64 v[132:133], v[28:29], v[36:37]
	v_mul_f64 v[40:41], v[10:11], s[12:13]
	v_add_f64 v[4:5], v[38:39], v[86:87]
	v_fmac_f64_e32 v[90:91], s[14:15], v[18:19]
	v_add_f64 v[134:135], v[34:35], v[136:137]
	v_add_f64 v[10:11], v[42:43], v[96:97]
	v_fmac_f64_e32 v[70:71], s[4:5], v[22:23]
	v_add_f64 v[22:23], v[26:27], v[82:83]
	v_add_f64 v[18:19], v[84:85], v[48:49]
	v_add_f64 v[36:37], v[28:29], -v[36:37]
	v_add_f64 v[28:29], v[38:39], -v[86:87]
	;; [unrolled: 1-line block ×6, first 2 shown]
	v_add_f64 v[48:49], v[0:1], v[72:73]
	v_add_f64 v[48:49], v[48:49], v[74:75]
	;; [unrolled: 1-line block ×5, first 2 shown]
	v_fmac_f64_e32 v[40:41], s[18:19], v[6:7]
	v_fmac_f64_e32 v[88:89], s[16:17], v[80:81]
	v_fma_f64 v[80:81], -0.5, v[48:49], v[0:1]
	v_add_f64 v[48:49], v[64:65], -v[14:15]
	v_add_f64 v[8:9], v[32:33], v[40:41]
	v_add_f64 v[20:21], v[24:25], v[88:89]
	;; [unrolled: 1-line block ×4, first 2 shown]
	v_add_f64 v[32:33], v[32:33], -v[40:41]
	v_add_f64 v[40:41], v[24:25], -v[88:89]
	;; [unrolled: 1-line block ×4, first 2 shown]
	v_fma_f64 v[84:85], s[10:11], v[48:49], v[80:81]
	v_add_f64 v[70:71], v[66:67], -v[68:69]
	v_add_f64 v[86:87], v[72:73], -v[74:75]
	;; [unrolled: 1-line block ×3, first 2 shown]
	v_fmac_f64_e32 v[80:81], s[4:5], v[48:49]
	v_fmac_f64_e32 v[84:85], s[12:13], v[70:71]
	v_add_f64 v[86:87], v[86:87], v[88:89]
	v_fmac_f64_e32 v[80:81], s[2:3], v[70:71]
	v_fmac_f64_e32 v[84:85], s[8:9], v[86:87]
	;; [unrolled: 1-line block ×3, first 2 shown]
	v_add_f64 v[86:87], v[72:73], v[78:79]
	v_fmac_f64_e32 v[0:1], -0.5, v[86:87]
	v_fma_f64 v[90:91], s[4:5], v[70:71], v[0:1]
	v_fmac_f64_e32 v[0:1], s[10:11], v[70:71]
	v_fmac_f64_e32 v[90:91], s[12:13], v[48:49]
	;; [unrolled: 1-line block ×3, first 2 shown]
	v_add_f64 v[48:49], v[2:3], v[64:65]
	v_add_f64 v[86:87], v[74:75], -v[72:73]
	v_add_f64 v[88:89], v[76:77], -v[78:79]
	v_add_f64 v[48:49], v[48:49], v[66:67]
	v_add_f64 v[86:87], v[86:87], v[88:89]
	;; [unrolled: 1-line block ×3, first 2 shown]
	v_fmac_f64_e32 v[90:91], s[8:9], v[86:87]
	v_fmac_f64_e32 v[0:1], s[8:9], v[86:87]
	v_add_f64 v[86:87], v[48:49], v[14:15]
	v_add_f64 v[48:49], v[66:67], v[68:69]
	v_fma_f64 v[88:89], -0.5, v[48:49], v[2:3]
	v_add_f64 v[48:49], v[72:73], -v[78:79]
	v_fma_f64 v[78:79], s[4:5], v[48:49], v[88:89]
	v_add_f64 v[70:71], v[74:75], -v[76:77]
	v_add_f64 v[72:73], v[64:65], -v[66:67]
	;; [unrolled: 1-line block ×3, first 2 shown]
	v_fmac_f64_e32 v[88:89], s[10:11], v[48:49]
	v_fmac_f64_e32 v[78:79], s[2:3], v[70:71]
	v_add_f64 v[72:73], v[72:73], v[74:75]
	v_fmac_f64_e32 v[88:89], s[12:13], v[70:71]
	v_fmac_f64_e32 v[78:79], s[8:9], v[72:73]
	v_fmac_f64_e32 v[88:89], s[8:9], v[72:73]
	v_add_f64 v[72:73], v[64:65], v[14:15]
	v_fmac_f64_e32 v[2:3], -0.5, v[72:73]
	v_fma_f64 v[96:97], s[10:11], v[70:71], v[2:3]
	v_add_f64 v[64:65], v[66:67], -v[64:65]
	v_add_f64 v[14:15], v[68:69], -v[14:15]
	v_fmac_f64_e32 v[2:3], s[4:5], v[70:71]
	v_fmac_f64_e32 v[96:97], s[2:3], v[48:49]
	v_add_f64 v[14:15], v[64:65], v[14:15]
	v_fmac_f64_e32 v[2:3], s[12:13], v[48:49]
	v_fmac_f64_e32 v[96:97], s[8:9], v[14:15]
	;; [unrolled: 1-line block ×3, first 2 shown]
	v_add_f64 v[14:15], v[58:59], v[52:53]
	v_add_f64 v[14:15], v[14:15], v[54:55]
	;; [unrolled: 1-line block ×5, first 2 shown]
	v_fma_f64 v[66:67], -0.5, v[14:15], v[58:59]
	v_add_f64 v[14:15], v[44:45], -v[50:51]
	v_fma_f64 v[68:69], s[10:11], v[14:15], v[66:67]
	v_add_f64 v[48:49], v[46:47], -v[12:13]
	v_add_f64 v[70:71], v[52:53], -v[54:55]
	;; [unrolled: 1-line block ×3, first 2 shown]
	v_fmac_f64_e32 v[66:67], s[4:5], v[14:15]
	v_fmac_f64_e32 v[68:69], s[12:13], v[48:49]
	v_add_f64 v[70:71], v[70:71], v[72:73]
	v_fmac_f64_e32 v[66:67], s[2:3], v[48:49]
	v_fmac_f64_e32 v[68:69], s[8:9], v[70:71]
	;; [unrolled: 1-line block ×3, first 2 shown]
	v_add_f64 v[70:71], v[52:53], v[60:61]
	v_fmac_f64_e32 v[58:59], -0.5, v[70:71]
	v_fma_f64 v[72:73], s[4:5], v[48:49], v[58:59]
	v_fmac_f64_e32 v[58:59], s[10:11], v[48:49]
	v_fmac_f64_e32 v[72:73], s[12:13], v[14:15]
	;; [unrolled: 1-line block ×3, first 2 shown]
	v_add_f64 v[14:15], v[62:63], v[44:45]
	v_add_f64 v[70:71], v[54:55], -v[52:53]
	v_add_f64 v[74:75], v[56:57], -v[60:61]
	v_add_f64 v[14:15], v[14:15], v[46:47]
	v_add_f64 v[70:71], v[70:71], v[74:75]
	v_add_f64 v[14:15], v[14:15], v[12:13]
	v_fmac_f64_e32 v[72:73], s[8:9], v[70:71]
	v_fmac_f64_e32 v[58:59], s[8:9], v[70:71]
	v_add_f64 v[70:71], v[14:15], v[50:51]
	v_add_f64 v[14:15], v[46:47], v[12:13]
	v_fma_f64 v[14:15], -0.5, v[14:15], v[62:63]
	v_add_f64 v[48:49], v[52:53], -v[60:61]
	v_fma_f64 v[74:75], s[4:5], v[48:49], v[14:15]
	v_add_f64 v[52:53], v[54:55], -v[56:57]
	v_add_f64 v[54:55], v[44:45], -v[46:47]
	v_add_f64 v[56:57], v[50:51], -v[12:13]
	v_fmac_f64_e32 v[14:15], s[10:11], v[48:49]
	v_fmac_f64_e32 v[74:75], s[2:3], v[52:53]
	v_add_f64 v[54:55], v[54:55], v[56:57]
	v_fmac_f64_e32 v[14:15], s[12:13], v[52:53]
	v_fmac_f64_e32 v[74:75], s[8:9], v[54:55]
	;; [unrolled: 1-line block ×3, first 2 shown]
	v_add_f64 v[54:55], v[44:45], v[50:51]
	v_fmac_f64_e32 v[62:63], -0.5, v[54:55]
	v_fma_f64 v[76:77], s[10:11], v[52:53], v[62:63]
	v_add_f64 v[44:45], v[46:47], -v[44:45]
	v_add_f64 v[12:13], v[12:13], -v[50:51]
	v_fmac_f64_e32 v[62:63], s[4:5], v[52:53]
	v_fmac_f64_e32 v[76:77], s[2:3], v[48:49]
	v_add_f64 v[12:13], v[44:45], v[12:13]
	v_fmac_f64_e32 v[62:63], s[12:13], v[48:49]
	v_fmac_f64_e32 v[76:77], s[8:9], v[12:13]
	;; [unrolled: 1-line block ×3, first 2 shown]
	v_mul_f64 v[12:13], v[74:75], s[12:13]
	v_fmac_f64_e32 v[12:13], s[18:19], v[68:69]
	v_mul_f64 v[128:129], v[76:77], s[10:11]
	v_mul_f64 v[130:131], v[62:63], s[10:11]
	v_mul_f64 v[136:137], v[14:15], s[12:13]
	v_mul_f64 v[142:143], v[74:75], s[18:19]
	v_mul_f64 v[164:165], v[76:77], s[8:9]
	v_mul_f64 v[166:167], v[62:63], s[16:17]
	v_mul_f64 v[14:15], v[14:15], s[14:15]
	v_add_f64 v[52:53], v[82:83], v[64:65]
	v_add_f64 v[48:49], v[84:85], v[12:13]
	v_fmac_f64_e32 v[128:129], s[8:9], v[72:73]
	v_fmac_f64_e32 v[130:131], s[16:17], v[58:59]
	;; [unrolled: 1-line block ×7, first 2 shown]
	v_add_f64 v[72:73], v[82:83], -v[64:65]
	v_add_f64 v[68:69], v[84:85], -v[12:13]
	v_accvgpr_read_b32 v82, a166
	v_add_f64 v[44:45], v[90:91], v[128:129]
	v_add_f64 v[60:61], v[0:1], v[130:131]
	;; [unrolled: 1-line block ×8, first 2 shown]
	v_add_f64 v[64:65], v[90:91], -v[128:129]
	v_add_f64 v[76:77], v[0:1], -v[130:131]
	;; [unrolled: 1-line block ×8, first 2 shown]
	v_accvgpr_read_b32 v84, a168
	v_accvgpr_read_b32 v85, a169
	s_barrier
	ds_write_b128 v99, v[132:135]
	ds_write_b128 v99, v[8:11] offset:160
	ds_write_b128 v99, v[4:7] offset:320
	;; [unrolled: 1-line block ×9, first 2 shown]
	ds_write_b128 v104, v[52:55]
	ds_write_b128 v104, v[48:51] offset:160
	ds_write_b128 v104, v[44:47] offset:320
	;; [unrolled: 1-line block ×9, first 2 shown]
	s_waitcnt lgkmcnt(0)
	s_barrier
	ds_read_b128 v[16:19], v172
	ds_read_b128 v[64:67], v172 offset:12800
	ds_read_b128 v[68:71], v172 offset:25600
	;; [unrolled: 1-line block ×19, first 2 shown]
	v_accvgpr_read_b32 v83, a167
	s_waitcnt lgkmcnt(14)
	v_mul_f64 v[80:81], v[84:85], v[66:67]
	v_fmac_f64_e32 v[80:81], v[82:83], v[64:65]
	v_mul_f64 v[64:65], v[84:85], v[64:65]
	v_fma_f64 v[64:65], v[82:83], v[66:67], -v[64:65]
	v_accvgpr_read_b32 v82, a162
	v_accvgpr_read_b32 v84, a164
	;; [unrolled: 1-line block ×4, first 2 shown]
	v_mul_f64 v[66:67], v[84:85], v[70:71]
	v_fmac_f64_e32 v[66:67], v[82:83], v[68:69]
	v_mul_f64 v[68:69], v[84:85], v[68:69]
	v_fma_f64 v[68:69], v[82:83], v[70:71], -v[68:69]
	v_accvgpr_read_b32 v82, a158
	v_accvgpr_read_b32 v84, a160
	;; [unrolled: 1-line block ×4, first 2 shown]
	v_mul_f64 v[70:71], v[84:85], v[74:75]
	v_fmac_f64_e32 v[70:71], v[82:83], v[72:73]
	v_mul_f64 v[72:73], v[84:85], v[72:73]
	v_accvgpr_read_b32 v84, a178
	v_accvgpr_read_b32 v86, a180
	;; [unrolled: 1-line block ×3, first 2 shown]
	v_fma_f64 v[72:73], v[82:83], v[74:75], -v[72:73]
	v_accvgpr_read_b32 v85, a179
	v_mul_f64 v[82:83], v[86:87], v[78:79]
	v_mul_f64 v[74:75], v[86:87], v[76:77]
	v_fmac_f64_e32 v[82:83], v[84:85], v[76:77]
	v_fma_f64 v[84:85], v[84:85], v[78:79], -v[74:75]
	v_accvgpr_read_b32 v74, a174
	v_accvgpr_read_b32 v76, a176
	v_accvgpr_read_b32 v77, a177
	v_accvgpr_read_b32 v75, a175
	s_waitcnt lgkmcnt(13)
	v_mul_f64 v[86:87], v[76:77], v[62:63]
	v_fmac_f64_e32 v[86:87], v[74:75], v[60:61]
	v_mul_f64 v[60:61], v[76:77], v[60:61]
	s_waitcnt lgkmcnt(9)
	v_mul_f64 v[96:97], v[182:183], v[50:51]
	s_waitcnt lgkmcnt(8)
	v_mul_f64 v[130:131], v[178:179], v[46:47]
	v_fma_f64 v[60:61], v[74:75], v[62:63], -v[60:61]
	v_accvgpr_read_b32 v74, a170
	v_mul_f64 v[88:89], v[186:187], v[54:55]
	v_fmac_f64_e32 v[96:97], v[180:181], v[48:49]
	v_mul_f64 v[48:49], v[182:183], v[48:49]
	v_fmac_f64_e32 v[130:131], v[176:177], v[44:45]
	v_mul_f64 v[44:45], v[178:179], v[44:45]
	s_waitcnt lgkmcnt(1)
	v_mul_f64 v[178:179], v[206:207], v[26:27]
	s_waitcnt lgkmcnt(0)
	v_mul_f64 v[182:183], v[202:203], v[22:23]
	v_accvgpr_read_b32 v76, a172
	v_accvgpr_read_b32 v77, a173
	v_fmac_f64_e32 v[88:89], v[184:185], v[52:53]
	v_mul_f64 v[52:53], v[186:187], v[52:53]
	v_mul_f64 v[174:175], v[210:211], v[30:31]
	v_fmac_f64_e32 v[178:179], v[204:205], v[24:25]
	v_mul_f64 v[24:25], v[206:207], v[24:25]
	v_fmac_f64_e32 v[182:183], v[200:201], v[20:21]
	v_mul_f64 v[20:21], v[202:203], v[20:21]
	v_accvgpr_read_b32 v75, a171
	v_mul_f64 v[62:63], v[76:77], v[58:59]
	v_fma_f64 v[90:91], v[184:185], v[54:55], -v[52:53]
	v_fma_f64 v[128:129], v[180:181], v[50:51], -v[48:49]
	v_fmac_f64_e32 v[174:175], v[208:209], v[28:29]
	v_mul_f64 v[28:29], v[210:211], v[28:29]
	v_fma_f64 v[180:181], v[204:205], v[26:27], -v[24:25]
	v_fma_f64 v[184:185], v[200:201], v[22:23], -v[20:21]
	v_add_f64 v[20:21], v[16:17], -v[66:67]
	v_add_f64 v[22:23], v[18:19], -v[68:69]
	;; [unrolled: 1-line block ×4, first 2 shown]
	v_fmac_f64_e32 v[62:63], v[74:75], v[56:57]
	v_mul_f64 v[56:57], v[76:77], v[56:57]
	v_fma_f64 v[44:45], v[176:177], v[46:47], -v[44:45]
	v_fma_f64 v[176:177], v[208:209], v[30:31], -v[28:29]
	v_fma_f64 v[16:17], v[16:17], 2.0, -v[20:21]
	v_fma_f64 v[18:19], v[18:19], 2.0, -v[22:23]
	;; [unrolled: 1-line block ×4, first 2 shown]
	v_fma_f64 v[56:57], v[74:75], v[58:59], -v[56:57]
	v_add_f64 v[64:65], v[16:17], -v[28:29]
	v_add_f64 v[66:67], v[18:19], -v[30:31]
	v_add_f64 v[68:69], v[20:21], v[26:27]
	v_add_f64 v[70:71], v[22:23], -v[24:25]
	v_fma_f64 v[76:77], v[16:17], 2.0, -v[64:65]
	v_fma_f64 v[78:79], v[18:19], 2.0, -v[66:67]
	;; [unrolled: 1-line block ×4, first 2 shown]
	v_add_f64 v[16:17], v[12:13], -v[86:87]
	v_add_f64 v[18:19], v[14:15], -v[60:61]
	;; [unrolled: 1-line block ×4, first 2 shown]
	v_fma_f64 v[12:13], v[12:13], 2.0, -v[16:17]
	v_fma_f64 v[14:15], v[14:15], 2.0, -v[18:19]
	;; [unrolled: 1-line block ×4, first 2 shown]
	v_add_f64 v[52:53], v[12:13], -v[24:25]
	v_add_f64 v[54:55], v[14:15], -v[26:27]
	v_add_f64 v[48:49], v[16:17], v[22:23]
	v_add_f64 v[50:51], v[18:19], -v[20:21]
	v_mul_f64 v[132:133], v[198:199], v[42:43]
	v_mul_f64 v[136:137], v[194:195], v[38:39]
	;; [unrolled: 1-line block ×3, first 2 shown]
	v_fma_f64 v[60:61], v[12:13], 2.0, -v[52:53]
	v_fma_f64 v[62:63], v[14:15], 2.0, -v[54:55]
	;; [unrolled: 1-line block ×4, first 2 shown]
	v_add_f64 v[12:13], v[8:9], -v[96:97]
	v_add_f64 v[14:15], v[10:11], -v[128:129]
	;; [unrolled: 1-line block ×4, first 2 shown]
	v_fmac_f64_e32 v[132:133], v[196:197], v[40:41]
	v_mul_f64 v[40:41], v[198:199], v[40:41]
	v_fmac_f64_e32 v[136:137], v[192:193], v[36:37]
	v_mul_f64 v[36:37], v[194:195], v[36:37]
	;; [unrolled: 2-line block ×3, first 2 shown]
	v_fma_f64 v[8:9], v[8:9], 2.0, -v[12:13]
	v_fma_f64 v[10:11], v[10:11], 2.0, -v[14:15]
	;; [unrolled: 1-line block ×4, first 2 shown]
	v_fma_f64 v[134:135], v[196:197], v[42:43], -v[40:41]
	v_fma_f64 v[142:143], v[192:193], v[38:39], -v[36:37]
	v_fma_f64 v[166:167], v[188:189], v[34:35], -v[32:33]
	v_add_f64 v[36:37], v[8:9], -v[20:21]
	v_add_f64 v[38:39], v[10:11], -v[22:23]
	v_add_f64 v[32:33], v[12:13], v[18:19]
	v_add_f64 v[34:35], v[14:15], -v[16:17]
	v_fma_f64 v[44:45], v[8:9], 2.0, -v[36:37]
	v_fma_f64 v[46:47], v[10:11], 2.0, -v[38:39]
	;; [unrolled: 1-line block ×4, first 2 shown]
	v_add_f64 v[8:9], v[4:5], -v[136:137]
	v_add_f64 v[10:11], v[6:7], -v[142:143]
	;; [unrolled: 1-line block ×4, first 2 shown]
	v_fma_f64 v[4:5], v[4:5], 2.0, -v[8:9]
	v_fma_f64 v[6:7], v[6:7], 2.0, -v[10:11]
	;; [unrolled: 1-line block ×4, first 2 shown]
	v_add_f64 v[20:21], v[4:5], -v[16:17]
	v_add_f64 v[22:23], v[6:7], -v[18:19]
	v_add_f64 v[16:17], v[8:9], v[14:15]
	v_add_f64 v[18:19], v[10:11], -v[12:13]
	v_fma_f64 v[24:25], v[8:9], 2.0, -v[16:17]
	v_fma_f64 v[26:27], v[10:11], 2.0, -v[18:19]
	v_add_f64 v[8:9], v[0:1], -v[178:179]
	v_add_f64 v[10:11], v[2:3], -v[180:181]
	;; [unrolled: 1-line block ×4, first 2 shown]
	v_fma_f64 v[28:29], v[4:5], 2.0, -v[20:21]
	v_fma_f64 v[30:31], v[6:7], 2.0, -v[22:23]
	;; [unrolled: 1-line block ×6, first 2 shown]
	v_add_f64 v[4:5], v[0:1], -v[4:5]
	v_add_f64 v[6:7], v[2:3], -v[6:7]
	s_barrier
	ds_write_b128 v127, v[76:79]
	ds_write_b128 v127, v[72:75] offset:1600
	ds_write_b128 v127, v[64:67] offset:3200
	;; [unrolled: 1-line block ×3, first 2 shown]
	v_accvgpr_read_b32 v64, a183
	v_fma_f64 v[12:13], v[0:1], 2.0, -v[4:5]
	v_fma_f64 v[14:15], v[2:3], 2.0, -v[6:7]
	v_add_f64 v[0:1], v[8:9], v[82:83]
	v_add_f64 v[2:3], v[10:11], -v[80:81]
	ds_write_b128 v64, v[60:63]
	ds_write_b128 v64, v[56:59] offset:1600
	ds_write_b128 v64, v[52:55] offset:3200
	ds_write_b128 v64, v[48:51] offset:4800
	v_accvgpr_read_b32 v48, a182
	v_fma_f64 v[8:9], v[8:9], 2.0, -v[0:1]
	v_fma_f64 v[10:11], v[10:11], 2.0, -v[2:3]
	ds_write_b128 v48, v[44:47]
	ds_write_b128 v48, v[40:43] offset:1600
	ds_write_b128 v48, v[36:39] offset:3200
	;; [unrolled: 1-line block ×3, first 2 shown]
	v_accvgpr_read_b32 v32, a184
	ds_write_b128 v32, v[28:31]
	ds_write_b128 v32, v[24:27] offset:1600
	ds_write_b128 v32, v[20:23] offset:3200
	;; [unrolled: 1-line block ×3, first 2 shown]
	ds_write_b128 v126, v[12:15]
	ds_write_b128 v126, v[8:11] offset:1600
	ds_write_b128 v126, v[4:7] offset:3200
	ds_write_b128 v126, v[0:3] offset:4800
	s_waitcnt lgkmcnt(0)
	s_barrier
	ds_read_b128 v[4:7], v172
	ds_read_b128 v[20:23], v172 offset:12800
	ds_read_b128 v[24:27], v172 offset:25600
	;; [unrolled: 1-line block ×19, first 2 shown]
	s_waitcnt lgkmcnt(14)
	v_mul_f64 v[80:81], v[222:223], v[22:23]
	v_fmac_f64_e32 v[80:81], v[220:221], v[20:21]
	v_mul_f64 v[20:21], v[222:223], v[20:21]
	v_fma_f64 v[20:21], v[220:221], v[22:23], -v[20:21]
	v_mul_f64 v[22:23], v[218:219], v[26:27]
	v_fmac_f64_e32 v[22:23], v[216:217], v[24:25]
	v_mul_f64 v[24:25], v[218:219], v[24:25]
	v_fma_f64 v[24:25], v[216:217], v[26:27], -v[24:25]
	;; [unrolled: 4-line block ×4, first 2 shown]
	s_waitcnt lgkmcnt(13)
	v_mul_f64 v[34:35], v[234:235], v[38:39]
	v_fmac_f64_e32 v[34:35], v[232:233], v[36:37]
	v_mul_f64 v[36:37], v[234:235], v[36:37]
	v_fma_f64 v[36:37], v[232:233], v[38:39], -v[36:37]
	s_waitcnt lgkmcnt(12)
	v_mul_f64 v[38:39], v[226:227], v[42:43]
	v_fmac_f64_e32 v[38:39], v[224:225], v[40:41]
	v_mul_f64 v[40:41], v[226:227], v[40:41]
	v_fma_f64 v[40:41], v[224:225], v[42:43], -v[40:41]
	;; [unrolled: 5-line block ×4, first 2 shown]
	s_waitcnt lgkmcnt(8)
	v_mul_f64 v[48:49], v[238:239], v[52:53]
	v_fma_f64 v[86:87], v[236:237], v[54:55], -v[48:49]
	s_waitcnt lgkmcnt(6)
	v_mul_f64 v[48:49], v[254:255], v[56:57]
	v_fma_f64 v[90:91], v[252:253], v[58:59], -v[48:49]
	;; [unrolled: 3-line block ×6, first 2 shown]
	s_waitcnt lgkmcnt(0)
	v_mul_f64 v[48:49], v[162:163], v[76:77]
	v_add_f64 v[22:23], v[4:5], -v[22:23]
	v_add_f64 v[24:25], v[6:7], -v[24:25]
	v_add_f64 v[26:27], v[80:81], -v[26:27]
	v_add_f64 v[28:29], v[20:21], -v[28:29]
	v_mul_f64 v[88:89], v[254:255], v[58:59]
	v_mul_f64 v[128:129], v[250:251], v[66:67]
	;; [unrolled: 1-line block ×3, first 2 shown]
	v_fma_f64 v[154:155], v[160:161], v[78:79], -v[48:49]
	v_fma_f64 v[4:5], v[4:5], 2.0, -v[22:23]
	v_fma_f64 v[6:7], v[6:7], 2.0, -v[24:25]
	;; [unrolled: 1-line block ×4, first 2 shown]
	v_fmac_f64_e32 v[88:89], v[252:253], v[56:57]
	v_mul_f64 v[96:97], v[170:171], v[62:63]
	v_fmac_f64_e32 v[128:129], v[248:249], v[64:65]
	v_add_f64 v[56:57], v[4:5], -v[48:49]
	v_add_f64 v[58:59], v[6:7], -v[20:21]
	v_add_f64 v[64:65], v[22:23], v[28:29]
	v_fmac_f64_e32 v[96:97], v[168:169], v[60:61]
	v_fmac_f64_e32 v[132:133], v[152:153], v[68:69]
	v_fma_f64 v[60:61], v[4:5], 2.0, -v[56:57]
	v_fma_f64 v[62:63], v[6:7], 2.0, -v[58:59]
	v_add_f64 v[66:67], v[24:25], -v[26:27]
	v_fma_f64 v[68:69], v[22:23], 2.0, -v[64:65]
	v_add_f64 v[4:5], v[0:1], -v[34:35]
	v_add_f64 v[6:7], v[2:3], -v[36:37]
	;; [unrolled: 1-line block ×4, first 2 shown]
	v_mul_f64 v[84:85], v[238:239], v[54:55]
	v_fma_f64 v[70:71], v[24:25], 2.0, -v[66:67]
	v_fma_f64 v[0:1], v[0:1], 2.0, -v[4:5]
	;; [unrolled: 1-line block ×5, first 2 shown]
	v_fmac_f64_e32 v[84:85], v[236:237], v[52:53]
	v_mul_f64 v[136:137], v[158:159], v[74:75]
	v_add_f64 v[52:53], v[0:1], -v[24:25]
	v_add_f64 v[54:55], v[2:3], -v[26:27]
	v_fmac_f64_e32 v[136:137], v[156:157], v[72:73]
	v_mul_f64 v[152:153], v[162:163], v[78:79]
	v_fma_f64 v[72:73], v[0:1], 2.0, -v[52:53]
	v_fma_f64 v[74:75], v[2:3], 2.0, -v[54:55]
	v_add_f64 v[48:49], v[4:5], v[22:23]
	v_add_f64 v[50:51], v[6:7], -v[20:21]
	v_add_f64 v[0:1], v[16:17], -v[46:47]
	;; [unrolled: 1-line block ×3, first 2 shown]
	v_fmac_f64_e32 v[152:153], v[160:161], v[76:77]
	v_fma_f64 v[76:77], v[4:5], 2.0, -v[48:49]
	v_fma_f64 v[78:79], v[6:7], 2.0, -v[50:51]
	;; [unrolled: 1-line block ×4, first 2 shown]
	v_add_f64 v[16:17], v[42:43], -v[84:85]
	v_add_f64 v[18:19], v[44:45], -v[86:87]
	v_fma_f64 v[20:21], v[42:43], 2.0, -v[16:17]
	v_fma_f64 v[22:23], v[44:45], 2.0, -v[18:19]
	v_add_f64 v[32:33], v[0:1], v[18:19]
	v_add_f64 v[34:35], v[2:3], -v[16:17]
	v_add_f64 v[36:37], v[4:5], -v[20:21]
	v_add_f64 v[38:39], v[6:7], -v[22:23]
	v_fma_f64 v[40:41], v[0:1], 2.0, -v[32:33]
	v_fma_f64 v[42:43], v[2:3], 2.0, -v[34:35]
	v_add_f64 v[0:1], v[12:13], -v[96:97]
	v_add_f64 v[2:3], v[14:15], -v[126:127]
	v_fma_f64 v[44:45], v[4:5], 2.0, -v[36:37]
	v_fma_f64 v[46:47], v[6:7], 2.0, -v[38:39]
	;; [unrolled: 1-line block ×4, first 2 shown]
	v_add_f64 v[14:15], v[88:89], -v[128:129]
	v_add_f64 v[12:13], v[90:91], -v[130:131]
	v_fma_f64 v[16:17], v[88:89], 2.0, -v[14:15]
	v_fma_f64 v[18:19], v[90:91], 2.0, -v[12:13]
	v_add_f64 v[12:13], v[0:1], v[12:13]
	v_add_f64 v[14:15], v[2:3], -v[14:15]
	v_add_f64 v[80:81], v[8:9], -v[136:137]
	;; [unrolled: 1-line block ×5, first 2 shown]
	v_fma_f64 v[24:25], v[0:1], 2.0, -v[12:13]
	v_fma_f64 v[26:27], v[2:3], 2.0, -v[14:15]
	;; [unrolled: 1-line block ×4, first 2 shown]
	v_add_f64 v[8:9], v[132:133], -v[152:153]
	v_add_f64 v[10:11], v[134:135], -v[154:155]
	v_fma_f64 v[28:29], v[4:5], 2.0, -v[16:17]
	v_fma_f64 v[30:31], v[6:7], 2.0, -v[18:19]
	;; [unrolled: 1-line block ×4, first 2 shown]
	v_add_f64 v[4:5], v[0:1], -v[4:5]
	v_add_f64 v[6:7], v[2:3], -v[6:7]
	v_fma_f64 v[20:21], v[0:1], 2.0, -v[4:5]
	v_fma_f64 v[22:23], v[2:3], 2.0, -v[6:7]
	v_add_f64 v[0:1], v[80:81], v[10:11]
	v_add_f64 v[2:3], v[82:83], -v[8:9]
	v_fma_f64 v[8:9], v[80:81], 2.0, -v[0:1]
	v_fma_f64 v[10:11], v[82:83], 2.0, -v[2:3]
	s_barrier
	ds_write_b128 v172, v[60:63]
	ds_write_b128 v172, v[68:71] offset:6400
	ds_write_b128 v172, v[56:59] offset:12800
	;; [unrolled: 1-line block ×7, first 2 shown]
	ds_write_b128 v105, v[44:47]
	ds_write_b128 v105, v[40:43] offset:6400
	ds_write_b128 v105, v[36:39] offset:12800
	;; [unrolled: 1-line block ×11, first 2 shown]
	s_waitcnt lgkmcnt(0)
	s_barrier
	ds_read_b128 v[16:19], v172
	ds_read_b128 v[36:39], v172 offset:25600
	ds_read_b128 v[24:27], v172 offset:2560
	;; [unrolled: 1-line block ×19, first 2 shown]
	s_waitcnt lgkmcnt(14)
	v_mul_f64 v[80:81], v[150:151], v[38:39]
	v_fmac_f64_e32 v[80:81], v[148:149], v[36:37]
	v_mul_f64 v[36:37], v[150:151], v[36:37]
	v_fma_f64 v[38:39], v[148:149], v[38:39], -v[36:37]
	v_mul_f64 v[36:37], v[146:147], v[40:41]
	v_mul_f64 v[82:83], v[146:147], v[42:43]
	v_fma_f64 v[42:43], v[144:145], v[42:43], -v[36:37]
	v_mul_f64 v[36:37], v[140:141], v[44:45]
	v_mul_f64 v[84:85], v[140:141], v[46:47]
	v_fma_f64 v[46:47], v[138:139], v[46:47], -v[36:37]
	s_waitcnt lgkmcnt(12)
	v_mul_f64 v[36:37], v[124:125], v[48:49]
	v_mul_f64 v[86:87], v[124:125], v[50:51]
	v_fma_f64 v[50:51], v[122:123], v[50:51], -v[36:37]
	s_waitcnt lgkmcnt(10)
	;; [unrolled: 4-line block ×5, first 2 shown]
	v_mul_f64 v[104:105], v[108:109], v[66:67]
	v_mul_f64 v[36:37], v[108:109], v[64:65]
	v_fmac_f64_e32 v[104:105], v[106:107], v[64:65]
	v_fma_f64 v[66:67], v[106:107], v[66:67], -v[36:37]
	s_waitcnt lgkmcnt(2)
	v_mul_f64 v[106:107], v[102:103], v[70:71]
	v_mul_f64 v[36:37], v[102:103], v[68:69]
	v_fmac_f64_e32 v[106:107], v[100:101], v[68:69]
	v_fma_f64 v[70:71], v[100:101], v[70:71], -v[36:37]
	s_waitcnt lgkmcnt(0)
	v_mul_f64 v[100:101], v[94:95], v[78:79]
	v_mul_f64 v[36:37], v[94:95], v[76:77]
	v_fmac_f64_e32 v[82:83], v[144:145], v[40:41]
	v_fmac_f64_e32 v[84:85], v[138:139], v[44:45]
	;; [unrolled: 1-line block ×7, first 2 shown]
	v_fma_f64 v[78:79], v[92:93], v[78:79], -v[36:37]
	v_add_f64 v[36:37], v[16:17], -v[80:81]
	v_add_f64 v[38:39], v[18:19], -v[38:39]
	;; [unrolled: 1-line block ×4, first 2 shown]
	v_fma_f64 v[16:17], v[16:17], 2.0, -v[36:37]
	v_fma_f64 v[18:19], v[18:19], 2.0, -v[38:39]
	v_add_f64 v[40:41], v[24:25], -v[82:83]
	v_add_f64 v[42:43], v[26:27], -v[42:43]
	;; [unrolled: 1-line block ×14, first 2 shown]
	v_fma_f64 v[0:1], v[0:1], 2.0, -v[68:69]
	v_fma_f64 v[2:3], v[2:3], 2.0, -v[70:71]
	v_add_f64 v[76:77], v[72:73], -v[100:101]
	v_add_f64 v[78:79], v[74:75], -v[78:79]
	v_fma_f64 v[24:25], v[24:25], 2.0, -v[40:41]
	v_fma_f64 v[26:27], v[26:27], 2.0, -v[42:43]
	;; [unrolled: 1-line block ×16, first 2 shown]
	ds_write_b128 v172, v[16:19]
	ds_write_b128 v172, v[36:39] offset:25600
	ds_write_b128 v172, v[24:27] offset:2560
	;; [unrolled: 1-line block ×19, first 2 shown]
	s_waitcnt lgkmcnt(0)
	s_barrier
	ds_read_b128 v[0:3], v172
	v_accvgpr_read_b32 v9, a7
	v_accvgpr_read_b32 v8, a6
	;; [unrolled: 1-line block ×4, first 2 shown]
	s_waitcnt lgkmcnt(0)
	v_mul_f64 v[4:5], v[8:9], v[2:3]
	v_fmac_f64_e32 v[4:5], v[6:7], v[0:1]
	s_mov_b32 s2, 0x47ae147b
	v_mul_f64 v[0:1], v[8:9], v[0:1]
	s_mov_b32 s3, 0x3f347ae1
	v_fma_f64 v[0:1], v[6:7], v[2:3], -v[0:1]
	v_mul_f64 v[6:7], v[0:1], s[2:3]
	v_mad_u64_u32 v[0:1], s[4:5], s0, v98, 0
	v_mov_b32_e32 v2, v1
	v_mad_u64_u32 v[2:3], s[4:5], s1, v98, v[2:3]
	v_mov_b32_e32 v1, v2
	v_accvgpr_read_b32 v3, a1
	v_accvgpr_read_b32 v9, a3
	;; [unrolled: 1-line block ×4, first 2 shown]
	v_lshl_add_u64 v[8:9], v[8:9], 4, v[2:3]
	v_lshl_add_u64 v[10:11], v[0:1], 4, v[8:9]
	ds_read_b128 v[0:3], v172 offset:5120
	v_accvgpr_read_b32 v15, a11
	v_mul_f64 v[4:5], v[4:5], s[2:3]
	v_accvgpr_read_b32 v14, a10
	global_store_dwordx4 v[10:11], v[4:7], off
	v_accvgpr_read_b32 v13, a9
	v_accvgpr_read_b32 v12, a8
	s_waitcnt lgkmcnt(0)
	v_mul_f64 v[4:5], v[14:15], v[2:3]
	v_fmac_f64_e32 v[4:5], v[12:13], v[0:1]
	v_mul_f64 v[0:1], v[14:15], v[0:1]
	v_fma_f64 v[0:1], v[12:13], v[2:3], -v[0:1]
	v_mul_f64 v[6:7], v[0:1], s[2:3]
	ds_read_b128 v[0:3], v172 offset:10240
	v_mov_b32_e32 v12, 0x1400
	v_mad_u64_u32 v[10:11], s[4:5], s0, v12, v[10:11]
	s_mul_i32 s4, s1, 0x1400
	v_accvgpr_read_b32 v14, a16
	v_mul_f64 v[4:5], v[4:5], s[2:3]
	v_add_u32_e32 v11, s4, v11
	v_accvgpr_read_b32 v16, a18
	v_accvgpr_read_b32 v17, a19
	global_store_dwordx4 v[10:11], v[4:7], off
	v_accvgpr_read_b32 v15, a17
	v_mad_u64_u32 v[10:11], s[6:7], s0, v12, v[10:11]
	s_waitcnt lgkmcnt(0)
	v_mul_f64 v[4:5], v[16:17], v[2:3]
	v_fmac_f64_e32 v[4:5], v[14:15], v[0:1]
	v_mul_f64 v[0:1], v[16:17], v[0:1]
	v_fma_f64 v[0:1], v[14:15], v[2:3], -v[0:1]
	v_mul_f64 v[6:7], v[0:1], s[2:3]
	ds_read_b128 v[0:3], v172 offset:15360
	v_accvgpr_read_b32 v14, a22
	v_mul_f64 v[4:5], v[4:5], s[2:3]
	v_add_u32_e32 v11, s4, v11
	v_accvgpr_read_b32 v16, a24
	v_accvgpr_read_b32 v17, a25
	global_store_dwordx4 v[10:11], v[4:7], off
	v_accvgpr_read_b32 v15, a23
	v_mad_u64_u32 v[10:11], s[6:7], s0, v12, v[10:11]
	s_waitcnt lgkmcnt(0)
	v_mul_f64 v[4:5], v[16:17], v[2:3]
	v_fmac_f64_e32 v[4:5], v[14:15], v[0:1]
	v_mul_f64 v[0:1], v[16:17], v[0:1]
	v_fma_f64 v[0:1], v[14:15], v[2:3], -v[0:1]
	v_mul_f64 v[6:7], v[0:1], s[2:3]
	ds_read_b128 v[0:3], v172 offset:20480
	v_accvgpr_read_b32 v14, a26
	v_mul_f64 v[4:5], v[4:5], s[2:3]
	v_add_u32_e32 v11, s4, v11
	v_accvgpr_read_b32 v16, a28
	v_accvgpr_read_b32 v17, a29
	global_store_dwordx4 v[10:11], v[4:7], off
	v_accvgpr_read_b32 v15, a27
	v_mov_b32_e32 v13, 0x2800
	s_waitcnt lgkmcnt(0)
	v_mul_f64 v[4:5], v[16:17], v[2:3]
	v_fmac_f64_e32 v[4:5], v[14:15], v[0:1]
	v_mul_f64 v[0:1], v[16:17], v[0:1]
	v_fma_f64 v[0:1], v[14:15], v[2:3], -v[0:1]
	v_accvgpr_read_b32 v3, a20
	v_mul_f64 v[6:7], v[0:1], s[2:3]
	v_mad_u64_u32 v[0:1], s[6:7], s0, v3, 0
	v_mov_b32_e32 v2, v1
	v_mad_u64_u32 v[2:3], s[6:7], s1, v3, v[2:3]
	v_mov_b32_e32 v1, v2
	v_mul_f64 v[4:5], v[4:5], s[2:3]
	v_lshl_add_u64 v[0:1], v[0:1], 4, v[8:9]
	global_store_dwordx4 v[0:1], v[4:7], off
	ds_read_b128 v[0:3], v172 offset:25600
	v_accvgpr_read_b32 v14, a30
	v_accvgpr_read_b32 v16, a32
	;; [unrolled: 1-line block ×4, first 2 shown]
	s_waitcnt lgkmcnt(0)
	v_mul_f64 v[4:5], v[16:17], v[2:3]
	v_fmac_f64_e32 v[4:5], v[14:15], v[0:1]
	v_mul_f64 v[0:1], v[16:17], v[0:1]
	v_fma_f64 v[0:1], v[14:15], v[2:3], -v[0:1]
	v_mul_f64 v[6:7], v[0:1], s[2:3]
	ds_read_b128 v[0:3], v172 offset:30720
	v_mad_u64_u32 v[10:11], s[6:7], s0, v13, v[10:11]
	s_mul_i32 s5, s1, 0x2800
	v_accvgpr_read_b32 v14, a34
	v_mul_f64 v[4:5], v[4:5], s[2:3]
	v_add_u32_e32 v11, s5, v11
	v_accvgpr_read_b32 v16, a36
	v_accvgpr_read_b32 v17, a37
	global_store_dwordx4 v[10:11], v[4:7], off
	v_accvgpr_read_b32 v15, a35
	v_mov_b32_e32 v12, 0x1400
	s_waitcnt lgkmcnt(0)
	v_mul_f64 v[4:5], v[16:17], v[2:3]
	v_fmac_f64_e32 v[4:5], v[14:15], v[0:1]
	v_mul_f64 v[0:1], v[16:17], v[0:1]
	v_fma_f64 v[0:1], v[14:15], v[2:3], -v[0:1]
	v_mul_f64 v[6:7], v[0:1], s[2:3]
	ds_read_b128 v[0:3], v172 offset:35840
	v_mad_u64_u32 v[10:11], s[6:7], s0, v12, v[10:11]
	v_accvgpr_read_b32 v14, a38
	v_mul_f64 v[4:5], v[4:5], s[2:3]
	v_add_u32_e32 v11, s4, v11
	v_accvgpr_read_b32 v16, a40
	v_accvgpr_read_b32 v17, a41
	global_store_dwordx4 v[10:11], v[4:7], off
	v_accvgpr_read_b32 v15, a39
	v_mad_u64_u32 v[10:11], s[6:7], s0, v12, v[10:11]
	s_waitcnt lgkmcnt(0)
	v_mul_f64 v[4:5], v[16:17], v[2:3]
	v_fmac_f64_e32 v[4:5], v[14:15], v[0:1]
	v_mul_f64 v[0:1], v[16:17], v[0:1]
	v_fma_f64 v[0:1], v[14:15], v[2:3], -v[0:1]
	v_mul_f64 v[6:7], v[0:1], s[2:3]
	ds_read_b128 v[0:3], v172 offset:40960
	v_accvgpr_read_b32 v14, a46
	v_mul_f64 v[4:5], v[4:5], s[2:3]
	v_add_u32_e32 v11, s4, v11
	v_accvgpr_read_b32 v16, a48
	v_accvgpr_read_b32 v17, a49
	global_store_dwordx4 v[10:11], v[4:7], off
	v_accvgpr_read_b32 v15, a47
	s_waitcnt lgkmcnt(0)
	v_mul_f64 v[4:5], v[16:17], v[2:3]
	v_fmac_f64_e32 v[4:5], v[14:15], v[0:1]
	v_mul_f64 v[0:1], v[16:17], v[0:1]
	v_fma_f64 v[0:1], v[14:15], v[2:3], -v[0:1]
	v_accvgpr_read_b32 v3, a21
	v_mul_f64 v[6:7], v[0:1], s[2:3]
	v_mad_u64_u32 v[0:1], s[6:7], s0, v3, 0
	v_mov_b32_e32 v2, v1
	v_mad_u64_u32 v[2:3], s[6:7], s1, v3, v[2:3]
	v_mov_b32_e32 v1, v2
	v_mul_f64 v[4:5], v[4:5], s[2:3]
	v_lshl_add_u64 v[0:1], v[0:1], 4, v[8:9]
	global_store_dwordx4 v[0:1], v[4:7], off
	ds_read_b128 v[0:3], v172 offset:46080
	v_accvgpr_read_b32 v14, a50
	v_accvgpr_read_b32 v6, a42
	;; [unrolled: 1-line block ×5, first 2 shown]
	s_waitcnt lgkmcnt(0)
	v_mul_f64 v[4:5], v[8:9], v[2:3]
	v_fmac_f64_e32 v[4:5], v[6:7], v[0:1]
	v_mul_f64 v[0:1], v[8:9], v[0:1]
	v_fma_f64 v[0:1], v[6:7], v[2:3], -v[0:1]
	v_mul_f64 v[6:7], v[0:1], s[2:3]
	ds_read_b128 v[0:3], v172 offset:2560
	v_mad_u64_u32 v[8:9], s[6:7], s0, v13, v[10:11]
	v_mul_f64 v[4:5], v[4:5], s[2:3]
	v_add_u32_e32 v9, s5, v9
	v_accvgpr_read_b32 v16, a52
	v_accvgpr_read_b32 v17, a53
	global_store_dwordx4 v[8:9], v[4:7], off
	v_accvgpr_read_b32 v15, a51
	s_mul_i32 s1, s1, 0xffff5600
	s_waitcnt lgkmcnt(0)
	v_mul_f64 v[4:5], v[16:17], v[2:3]
	v_fmac_f64_e32 v[4:5], v[14:15], v[0:1]
	v_mul_f64 v[0:1], v[16:17], v[0:1]
	v_fma_f64 v[0:1], v[14:15], v[2:3], -v[0:1]
	v_mul_f64 v[6:7], v[0:1], s[2:3]
	v_mov_b32_e32 v0, 0xffff5600
	v_mad_u64_u32 v[8:9], s[6:7], s0, v0, v[8:9]
	ds_read_b128 v[0:3], v172 offset:7680
	s_sub_i32 s1, s1, s0
	v_accvgpr_read_b32 v14, a54
	v_mul_f64 v[4:5], v[4:5], s[2:3]
	v_add_u32_e32 v9, s1, v9
	v_accvgpr_read_b32 v16, a56
	v_accvgpr_read_b32 v17, a57
	global_store_dwordx4 v[8:9], v[4:7], off
	v_accvgpr_read_b32 v15, a55
	v_mad_u64_u32 v[8:9], s[6:7], s0, v12, v[8:9]
	s_waitcnt lgkmcnt(0)
	v_mul_f64 v[4:5], v[16:17], v[2:3]
	v_fmac_f64_e32 v[4:5], v[14:15], v[0:1]
	v_mul_f64 v[0:1], v[16:17], v[0:1]
	v_fma_f64 v[0:1], v[14:15], v[2:3], -v[0:1]
	v_mul_f64 v[6:7], v[0:1], s[2:3]
	ds_read_b128 v[0:3], v172 offset:12800
	v_accvgpr_read_b32 v14, a58
	v_mul_f64 v[4:5], v[4:5], s[2:3]
	v_add_u32_e32 v9, s4, v9
	v_accvgpr_read_b32 v16, a60
	v_accvgpr_read_b32 v17, a61
	global_store_dwordx4 v[8:9], v[4:7], off
	v_accvgpr_read_b32 v15, a59
	v_mad_u64_u32 v[8:9], s[6:7], s0, v12, v[8:9]
	s_waitcnt lgkmcnt(0)
	v_mul_f64 v[4:5], v[16:17], v[2:3]
	v_fmac_f64_e32 v[4:5], v[14:15], v[0:1]
	v_mul_f64 v[0:1], v[16:17], v[0:1]
	v_fma_f64 v[0:1], v[14:15], v[2:3], -v[0:1]
	v_mul_f64 v[6:7], v[0:1], s[2:3]
	ds_read_b128 v[0:3], v172 offset:17920
	;; [unrolled: 15-line block ×7, first 2 shown]
	v_accvgpr_read_b32 v14, a82
	v_mul_f64 v[4:5], v[4:5], s[2:3]
	v_add_u32_e32 v11, s4, v11
	v_accvgpr_read_b32 v16, a84
	v_accvgpr_read_b32 v17, a85
	global_store_dwordx4 v[10:11], v[4:7], off
	v_accvgpr_read_b32 v15, a83
	s_waitcnt lgkmcnt(0)
	v_mul_f64 v[4:5], v[16:17], v[2:3]
	v_fmac_f64_e32 v[4:5], v[14:15], v[0:1]
	v_mul_f64 v[0:1], v[16:17], v[0:1]
	v_fma_f64 v[0:1], v[14:15], v[2:3], -v[0:1]
	v_mul_f64 v[8:9], v[0:1], s[2:3]
	ds_read_b128 v[0:3], v172 offset:48640
	v_mul_f64 v[6:7], v[4:5], s[2:3]
	v_mad_u64_u32 v[4:5], s[6:7], s0, v12, v[10:11]
	v_add_u32_e32 v5, s4, v5
	global_store_dwordx4 v[4:5], v[6:9], off
	s_nop 1
	v_accvgpr_read_b32 v8, a12
	v_accvgpr_read_b32 v10, a14
	;; [unrolled: 1-line block ×4, first 2 shown]
	s_waitcnt lgkmcnt(0)
	v_mul_f64 v[6:7], v[10:11], v[2:3]
	v_fmac_f64_e32 v[6:7], v[8:9], v[0:1]
	v_mul_f64 v[0:1], v[10:11], v[0:1]
	v_fma_f64 v[0:1], v[8:9], v[2:3], -v[0:1]
	v_mul_f64 v[8:9], v[0:1], s[2:3]
	v_mad_u64_u32 v[0:1], s[0:1], s0, v12, v[4:5]
	v_mul_f64 v[6:7], v[6:7], s[2:3]
	v_add_u32_e32 v1, s4, v1
	global_store_dwordx4 v[0:1], v[6:9], off
.LBB0_2:
	s_endpgm
	.section	.rodata,"a",@progbits
	.p2align	6, 0x0
	.amdhsa_kernel bluestein_single_back_len3200_dim1_dp_op_CI_CI
		.amdhsa_group_segment_fixed_size 51200
		.amdhsa_private_segment_fixed_size 0
		.amdhsa_kernarg_size 104
		.amdhsa_user_sgpr_count 2
		.amdhsa_user_sgpr_dispatch_ptr 0
		.amdhsa_user_sgpr_queue_ptr 0
		.amdhsa_user_sgpr_kernarg_segment_ptr 1
		.amdhsa_user_sgpr_dispatch_id 0
		.amdhsa_user_sgpr_kernarg_preload_length 0
		.amdhsa_user_sgpr_kernarg_preload_offset 0
		.amdhsa_user_sgpr_private_segment_size 0
		.amdhsa_uses_dynamic_stack 0
		.amdhsa_enable_private_segment 0
		.amdhsa_system_sgpr_workgroup_id_x 1
		.amdhsa_system_sgpr_workgroup_id_y 0
		.amdhsa_system_sgpr_workgroup_id_z 0
		.amdhsa_system_sgpr_workgroup_info 0
		.amdhsa_system_vgpr_workitem_id 0
		.amdhsa_next_free_vgpr 441
		.amdhsa_next_free_sgpr 38
		.amdhsa_accum_offset 256
		.amdhsa_reserve_vcc 1
		.amdhsa_float_round_mode_32 0
		.amdhsa_float_round_mode_16_64 0
		.amdhsa_float_denorm_mode_32 3
		.amdhsa_float_denorm_mode_16_64 3
		.amdhsa_dx10_clamp 1
		.amdhsa_ieee_mode 1
		.amdhsa_fp16_overflow 0
		.amdhsa_tg_split 0
		.amdhsa_exception_fp_ieee_invalid_op 0
		.amdhsa_exception_fp_denorm_src 0
		.amdhsa_exception_fp_ieee_div_zero 0
		.amdhsa_exception_fp_ieee_overflow 0
		.amdhsa_exception_fp_ieee_underflow 0
		.amdhsa_exception_fp_ieee_inexact 0
		.amdhsa_exception_int_div_zero 0
	.end_amdhsa_kernel
	.text
.Lfunc_end0:
	.size	bluestein_single_back_len3200_dim1_dp_op_CI_CI, .Lfunc_end0-bluestein_single_back_len3200_dim1_dp_op_CI_CI
                                        ; -- End function
	.section	.AMDGPU.csdata,"",@progbits
; Kernel info:
; codeLenInByte = 27216
; NumSgprs: 44
; NumVgprs: 256
; NumAgprs: 185
; TotalNumVgprs: 441
; ScratchSize: 0
; MemoryBound: 0
; FloatMode: 240
; IeeeMode: 1
; LDSByteSize: 51200 bytes/workgroup (compile time only)
; SGPRBlocks: 5
; VGPRBlocks: 55
; NumSGPRsForWavesPerEU: 44
; NumVGPRsForWavesPerEU: 441
; AccumOffset: 256
; Occupancy: 1
; WaveLimiterHint : 1
; COMPUTE_PGM_RSRC2:SCRATCH_EN: 0
; COMPUTE_PGM_RSRC2:USER_SGPR: 2
; COMPUTE_PGM_RSRC2:TRAP_HANDLER: 0
; COMPUTE_PGM_RSRC2:TGID_X_EN: 1
; COMPUTE_PGM_RSRC2:TGID_Y_EN: 0
; COMPUTE_PGM_RSRC2:TGID_Z_EN: 0
; COMPUTE_PGM_RSRC2:TIDIG_COMP_CNT: 0
; COMPUTE_PGM_RSRC3_GFX90A:ACCUM_OFFSET: 63
; COMPUTE_PGM_RSRC3_GFX90A:TG_SPLIT: 0
	.text
	.p2alignl 6, 3212836864
	.fill 256, 4, 3212836864
	.type	__hip_cuid_35b0d82e7227e41f,@object ; @__hip_cuid_35b0d82e7227e41f
	.section	.bss,"aw",@nobits
	.globl	__hip_cuid_35b0d82e7227e41f
__hip_cuid_35b0d82e7227e41f:
	.byte	0                               ; 0x0
	.size	__hip_cuid_35b0d82e7227e41f, 1

	.ident	"AMD clang version 19.0.0git (https://github.com/RadeonOpenCompute/llvm-project roc-6.4.0 25133 c7fe45cf4b819c5991fe208aaa96edf142730f1d)"
	.section	".note.GNU-stack","",@progbits
	.addrsig
	.addrsig_sym __hip_cuid_35b0d82e7227e41f
	.amdgpu_metadata
---
amdhsa.kernels:
  - .agpr_count:     185
    .args:
      - .actual_access:  read_only
        .address_space:  global
        .offset:         0
        .size:           8
        .value_kind:     global_buffer
      - .actual_access:  read_only
        .address_space:  global
        .offset:         8
        .size:           8
        .value_kind:     global_buffer
      - .actual_access:  read_only
        .address_space:  global
        .offset:         16
        .size:           8
        .value_kind:     global_buffer
      - .actual_access:  read_only
        .address_space:  global
        .offset:         24
        .size:           8
        .value_kind:     global_buffer
      - .actual_access:  read_only
        .address_space:  global
        .offset:         32
        .size:           8
        .value_kind:     global_buffer
      - .offset:         40
        .size:           8
        .value_kind:     by_value
      - .address_space:  global
        .offset:         48
        .size:           8
        .value_kind:     global_buffer
      - .address_space:  global
        .offset:         56
        .size:           8
        .value_kind:     global_buffer
      - .address_space:  global
        .offset:         64
        .size:           8
        .value_kind:     global_buffer
      - .address_space:  global
        .offset:         72
        .size:           8
        .value_kind:     global_buffer
      - .offset:         80
        .size:           4
        .value_kind:     by_value
      - .address_space:  global
        .offset:         88
        .size:           8
        .value_kind:     global_buffer
      - .address_space:  global
        .offset:         96
        .size:           8
        .value_kind:     global_buffer
    .group_segment_fixed_size: 51200
    .kernarg_segment_align: 8
    .kernarg_segment_size: 104
    .language:       OpenCL C
    .language_version:
      - 2
      - 0
    .max_flat_workgroup_size: 160
    .name:           bluestein_single_back_len3200_dim1_dp_op_CI_CI
    .private_segment_fixed_size: 0
    .sgpr_count:     44
    .sgpr_spill_count: 0
    .symbol:         bluestein_single_back_len3200_dim1_dp_op_CI_CI.kd
    .uniform_work_group_size: 1
    .uses_dynamic_stack: false
    .vgpr_count:     441
    .vgpr_spill_count: 0
    .wavefront_size: 64
amdhsa.target:   amdgcn-amd-amdhsa--gfx950
amdhsa.version:
  - 1
  - 2
...

	.end_amdgpu_metadata
